;; amdgpu-corpus repo=ROCm/rocFFT kind=compiled arch=gfx950 opt=O3
	.text
	.amdgcn_target "amdgcn-amd-amdhsa--gfx950"
	.amdhsa_code_object_version 6
	.protected	bluestein_single_back_len1089_dim1_dp_op_CI_CI ; -- Begin function bluestein_single_back_len1089_dim1_dp_op_CI_CI
	.globl	bluestein_single_back_len1089_dim1_dp_op_CI_CI
	.p2align	8
	.type	bluestein_single_back_len1089_dim1_dp_op_CI_CI,@function
bluestein_single_back_len1089_dim1_dp_op_CI_CI: ; @bluestein_single_back_len1089_dim1_dp_op_CI_CI
; %bb.0:
	s_load_dwordx4 s[4:7], s[0:1], 0x28
	v_mul_u32_u24_e32 v1, 0x21e, v0
	v_mov_b32_e32 v255, 0
	v_add_u32_sdwa v6, s2, v1 dst_sel:DWORD dst_unused:UNUSED_PAD src0_sel:DWORD src1_sel:WORD_1
	v_mov_b32_e32 v7, v255
	s_waitcnt lgkmcnt(0)
	v_cmp_gt_u64_e32 vcc, s[4:5], v[6:7]
	s_and_saveexec_b64 s[2:3], vcc
	s_cbranch_execz .LBB0_18
; %bb.1:
	s_load_dwordx4 s[12:15], s[0:1], 0x18
	s_load_dwordx4 s[8:11], s[0:1], 0x0
	v_mov_b32_e32 v2, s6
	v_mov_b32_e32 v3, s7
	s_movk_i32 s2, 0x79
	s_waitcnt lgkmcnt(0)
	s_load_dwordx4 s[4:7], s[12:13], 0x0
	v_mul_lo_u16_sdwa v1, v1, s2 dst_sel:DWORD dst_unused:UNUSED_PAD src0_sel:WORD_1 src1_sel:DWORD
	v_sub_u16_e32 v254, v0, v1
	v_accvgpr_write_b32 a26, v6
	v_mov_b32_e32 v34, 0x16b0
	s_waitcnt lgkmcnt(0)
	v_mad_u64_u32 v[0:1], s[2:3], s6, v6, 0
	v_mov_b32_e32 v4, v1
	v_mad_u64_u32 v[4:5], s[2:3], s7, v6, v[4:5]
	v_mov_b32_e32 v1, v4
	v_mad_u64_u32 v[4:5], s[2:3], s4, v254, 0
	v_mov_b32_e32 v6, v5
	v_mad_u64_u32 v[6:7], s[2:3], s5, v254, v[6:7]
	v_mov_b32_e32 v5, v6
	v_lshl_add_u64 v[0:1], v[0:1], 4, v[2:3]
	v_lshl_add_u64 v[0:1], v[4:5], 4, v[0:1]
	v_lshlrev_b32_e32 v184, 4, v254
	v_mov_b32_e32 v185, v255
	v_mad_u64_u32 v[8:9], s[2:3], s4, v34, v[0:1]
	v_lshl_add_u64 v[20:21], s[8:9], 0, v[184:185]
	s_movk_i32 s3, 0x1000
	s_mul_i32 s2, s5, 0x16b0
	v_add_co_u32_e32 v16, vcc, s3, v20
	v_add_u32_e32 v9, s2, v9
	s_nop 0
	v_addc_co_u32_e32 v17, vcc, 0, v21, vcc
	s_movk_i32 s3, 0x2000
	global_load_dwordx4 v[36:39], v[0:1], off
	global_load_dwordx4 v[56:59], v184, s[8:9]
	v_mad_u64_u32 v[10:11], s[6:7], s4, v34, v[8:9]
	v_add_co_u32_e32 v28, vcc, s3, v20
	global_load_dwordx4 v[48:51], v[16:17], off offset:1712
	v_add_u32_e32 v11, s2, v11
	v_addc_co_u32_e32 v29, vcc, 0, v21, vcc
	v_mov_b32_e32 v24, 0xffffda30
	s_mul_i32 s3, s5, 0xffffda30
	global_load_dwordx4 v[0:3], v[8:9], off
	global_load_dwordx4 v[4:7], v[10:11], off
	global_load_dwordx4 v[52:55], v[28:29], off offset:3424
	global_load_dwordx4 v[64:67], v184, s[8:9] offset:1936
	v_mad_u64_u32 v[18:19], s[6:7], s4, v24, v[10:11]
	s_sub_i32 s3, s3, s4
	v_add_u32_e32 v19, s3, v19
	v_mad_u64_u32 v[22:23], s[6:7], s4, v34, v[18:19]
	v_add_u32_e32 v23, s2, v23
	s_movk_i32 s5, 0x3000
	global_load_dwordx4 v[8:11], v[18:19], off
	global_load_dwordx4 v[12:15], v[22:23], off
	global_load_dwordx4 v[60:63], v[16:17], off offset:3648
	v_mad_u64_u32 v[22:23], s[6:7], s4, v34, v[22:23]
	v_add_co_u32_e32 v30, vcc, s5, v20
	v_add_u32_e32 v23, s2, v23
	s_nop 0
	v_addc_co_u32_e32 v31, vcc, 0, v21, vcc
	global_load_dwordx4 v[16:19], v[22:23], off
	global_load_dwordx4 v[68:71], v[30:31], off offset:1264
	v_mad_u64_u32 v[24:25], s[6:7], s4, v24, v[22:23]
	v_add_u32_e32 v25, s3, v25
	global_load_dwordx4 v[20:23], v[24:25], off
	global_load_dwordx4 v[72:75], v184, s[8:9] offset:3872
	v_mad_u64_u32 v[32:33], s[6:7], s4, v34, v[24:25]
	v_add_u32_e32 v33, s2, v33
	global_load_dwordx4 v[24:27], v[32:33], off
	global_load_dwordx4 v[76:79], v[28:29], off offset:1488
	v_mad_u64_u32 v[28:29], s[4:5], s4, v34, v[32:33]
	v_add_u32_e32 v29, s2, v29
	global_load_dwordx4 v[32:35], v[30:31], off offset:3200
	global_load_dwordx4 v[40:43], v[28:29], off
	s_load_dwordx2 s[2:3], s[0:1], 0x38
	s_load_dwordx4 s[4:7], s[14:15], 0x0
	s_mov_b64 s[0:1], 0x79
	v_lshl_add_u64 v[122:123], v[254:255], 0, s[0:1]
	s_mov_b64 s[0:1], 0xf2
	s_mov_b32 s13, 0xbfebb67a
                                        ; implicit-def: $vgpr112_vgpr113
                                        ; implicit-def: $vgpr116_vgpr117
	s_waitcnt vmcnt(16)
	v_accvgpr_write_b32 a10, v56
	v_mul_f64 v[44:45], v[38:39], v[58:59]
	v_mul_f64 v[28:29], v[36:37], v[58:59]
	v_fmac_f64_e32 v[44:45], v[36:37], v[56:57]
	v_fma_f64 v[46:47], v[38:39], v[56:57], -v[28:29]
	ds_write_b128 v184, v[44:47]
	s_waitcnt vmcnt(15)
	v_accvgpr_write_b32 a2, v48
	v_accvgpr_write_b32 a11, v57
	;; [unrolled: 1-line block ×4, first 2 shown]
	s_waitcnt vmcnt(14)
	v_mul_f64 v[36:37], v[2:3], v[50:51]
	v_mul_f64 v[28:29], v[0:1], v[50:51]
	v_fmac_f64_e32 v[36:37], v[0:1], v[48:49]
	v_fma_f64 v[38:39], v[2:3], v[48:49], -v[28:29]
	s_waitcnt vmcnt(12)
	v_mul_f64 v[0:1], v[6:7], v[54:55]
	v_mul_f64 v[2:3], v[4:5], v[54:55]
	v_fmac_f64_e32 v[0:1], v[4:5], v[52:53]
	v_fma_f64 v[2:3], v[6:7], v[52:53], -v[2:3]
	ds_write_b128 v184, v[0:3] offset:11616
	ds_write_b128 v184, v[36:39] offset:5808
	s_waitcnt vmcnt(10)
	v_mul_f64 v[0:1], v[10:11], v[66:67]
	v_mul_f64 v[2:3], v[8:9], v[66:67]
	v_fmac_f64_e32 v[0:1], v[8:9], v[64:65]
	v_fma_f64 v[2:3], v[10:11], v[64:65], -v[2:3]
	ds_write_b128 v184, v[0:3] offset:1936
	s_waitcnt vmcnt(8)
	v_mul_f64 v[0:1], v[14:15], v[62:63]
	v_mul_f64 v[2:3], v[12:13], v[62:63]
	v_fmac_f64_e32 v[0:1], v[12:13], v[60:61]
	v_fma_f64 v[2:3], v[14:15], v[60:61], -v[2:3]
	ds_write_b128 v184, v[0:3] offset:7744
	v_lshl_add_u64 v[28:29], v[254:255], 0, s[0:1]
	s_waitcnt vmcnt(6)
	v_mul_f64 v[0:1], v[18:19], v[70:71]
	v_mul_f64 v[2:3], v[16:17], v[70:71]
	v_fmac_f64_e32 v[0:1], v[16:17], v[68:69]
	v_fma_f64 v[2:3], v[18:19], v[68:69], -v[2:3]
	ds_write_b128 v184, v[0:3] offset:13552
	s_waitcnt vmcnt(4)
	v_mul_f64 v[0:1], v[22:23], v[74:75]
	v_mul_f64 v[2:3], v[20:21], v[74:75]
	v_fmac_f64_e32 v[0:1], v[20:21], v[72:73]
	v_fma_f64 v[2:3], v[22:23], v[72:73], -v[2:3]
	ds_write_b128 v184, v[0:3] offset:3872
	;; [unrolled: 6-line block ×4, first 2 shown]
	s_waitcnt lgkmcnt(0)
	s_barrier
	ds_read_b128 v[80:83], v184
	ds_read_b128 v[84:87], v184 offset:1936
	ds_read_b128 v[0:3], v184 offset:11616
	;; [unrolled: 1-line block ×8, first 2 shown]
	v_accvgpr_write_b32 a32, v76
	s_waitcnt lgkmcnt(4)
	v_add_f64 v[24:25], v[80:81], v[8:9]
	v_accvgpr_write_b32 a33, v77
	v_accvgpr_write_b32 a34, v78
	;; [unrolled: 1-line block ×3, first 2 shown]
	v_add_f64 v[76:77], v[24:25], v[0:1]
	v_add_f64 v[24:25], v[8:9], v[0:1]
	s_mov_b32 s0, 0xe8584caa
	v_fmac_f64_e32 v[80:81], -0.5, v[24:25]
	v_add_f64 v[24:25], v[10:11], -v[2:3]
	s_mov_b32 s1, 0x3febb67a
	s_mov_b32 s12, s0
	v_fma_f64 v[88:89], s[0:1], v[24:25], v[80:81]
	v_fmac_f64_e32 v[80:81], s[12:13], v[24:25]
	v_add_f64 v[24:25], v[82:83], v[10:11]
	v_add_f64 v[78:79], v[24:25], v[2:3]
	v_add_f64 v[2:3], v[10:11], v[2:3]
	v_fmac_f64_e32 v[82:83], -0.5, v[2:3]
	v_add_f64 v[0:1], v[8:9], -v[0:1]
	v_fma_f64 v[90:91], s[12:13], v[0:1], v[82:83]
	v_fmac_f64_e32 v[82:83], s[0:1], v[0:1]
	s_waitcnt lgkmcnt(2)
	v_add_f64 v[0:1], v[84:85], v[12:13]
	v_add_f64 v[96:97], v[0:1], v[4:5]
	;; [unrolled: 1-line block ×3, first 2 shown]
	v_fmac_f64_e32 v[84:85], -0.5, v[0:1]
	v_add_f64 v[0:1], v[14:15], -v[6:7]
	v_fma_f64 v[100:101], s[0:1], v[0:1], v[84:85]
	v_fmac_f64_e32 v[84:85], s[12:13], v[0:1]
	v_add_f64 v[0:1], v[86:87], v[14:15]
	v_add_f64 v[98:99], v[0:1], v[6:7]
	;; [unrolled: 1-line block ×3, first 2 shown]
	v_fmac_f64_e32 v[86:87], -0.5, v[0:1]
	v_add_f64 v[0:1], v[12:13], -v[4:5]
	v_fma_f64 v[102:103], s[12:13], v[0:1], v[86:87]
	v_fmac_f64_e32 v[86:87], s[0:1], v[0:1]
	s_waitcnt lgkmcnt(1)
	v_add_f64 v[0:1], v[92:93], v[16:17]
	s_waitcnt lgkmcnt(0)
	v_add_f64 v[104:105], v[0:1], v[20:21]
	v_add_f64 v[0:1], v[16:17], v[20:21]
	v_fmac_f64_e32 v[92:93], -0.5, v[0:1]
	v_add_f64 v[0:1], v[18:19], -v[22:23]
	v_fma_f64 v[108:109], s[0:1], v[0:1], v[92:93]
	v_fmac_f64_e32 v[92:93], s[12:13], v[0:1]
	v_add_f64 v[0:1], v[94:95], v[18:19]
	v_add_f64 v[106:107], v[0:1], v[22:23]
	;; [unrolled: 1-line block ×3, first 2 shown]
	v_fmac_f64_e32 v[94:95], -0.5, v[0:1]
	v_add_f64 v[0:1], v[16:17], -v[20:21]
	v_fma_f64 v[110:111], s[12:13], v[0:1], v[94:95]
	v_fmac_f64_e32 v[94:95], s[0:1], v[0:1]
	v_mul_lo_u16_e32 v0, 3, v254
	v_lshlrev_b32_e32 v123, 4, v0
	v_mul_u32_u24_e32 v0, 3, v122
	v_lshlrev_b32_e32 v0, 4, v0
	s_barrier
	ds_write_b128 v123, v[76:79]
	ds_write_b128 v123, v[88:91] offset:16
	ds_write_b128 v123, v[80:83] offset:32
	ds_write_b128 v0, v[96:99]
	ds_write_b128 v0, v[100:103] offset:16
	v_accvgpr_write_b32 a41, v0
	ds_write_b128 v0, v[84:87] offset:32
	v_mul_u32_u24_e32 v0, 3, v28
	v_accvgpr_write_b32 a6, v52
	v_accvgpr_write_b32 a18, v64
	;; [unrolled: 1-line block ×6, first 2 shown]
	v_lshlrev_b32_e32 v0, 4, v0
	s_movk_i32 s0, 0x63
	v_accvgpr_write_b32 a3, v49
	v_accvgpr_write_b32 a4, v50
	;; [unrolled: 1-line block ×22, first 2 shown]
	v_cmp_gt_u16_e32 vcc, s0, v254
	ds_write_b128 v0, v[104:107]
	ds_write_b128 v0, v[108:111] offset:16
	ds_write_b128 v0, v[92:95] offset:32
	s_waitcnt lgkmcnt(0)
	s_barrier
	s_and_saveexec_b64 s[0:1], vcc
	s_cbranch_execz .LBB0_3
; %bb.2:
	ds_read_b128 v[76:79], v184
	ds_read_b128 v[88:91], v184 offset:1584
	ds_read_b128 v[80:83], v184 offset:3168
	ds_read_b128 v[96:99], v184 offset:4752
	ds_read_b128 v[100:103], v184 offset:6336
	ds_read_b128 v[84:87], v184 offset:7920
	ds_read_b128 v[104:107], v184 offset:9504
	ds_read_b128 v[108:111], v184 offset:11088
	ds_read_b128 v[92:95], v184 offset:12672
	ds_read_b128 v[112:115], v184 offset:14256
	ds_read_b128 v[116:119], v184 offset:15840
.LBB0_3:
	s_or_b64 exec, exec, s[0:1]
	s_movk_i32 s0, 0xab
	v_mul_lo_u16_sdwa v0, v254, s0 dst_sel:DWORD dst_unused:UNUSED_PAD src0_sel:BYTE_0 src1_sel:DWORD
	v_lshrrev_b16_e32 v20, 9, v0
	v_mul_lo_u16_e32 v0, 3, v20
	v_sub_u16_e32 v0, v254, v0
	v_and_b32_e32 v0, 0xff, v0
	v_accvgpr_write_b32 a1, v0
	v_mul_u32_u24_e32 v0, 10, v0
	v_lshlrev_b32_e32 v0, 4, v0
	global_load_dwordx4 v[48:51], v0, s[10:11]
	global_load_dwordx4 v[44:47], v0, s[10:11] offset:16
	global_load_dwordx4 v[40:43], v0, s[10:11] offset:32
	;; [unrolled: 1-line block ×9, first 2 shown]
	s_mov_b32 s14, 0xf8bb580b
	s_mov_b32 s0, 0x8764f0ba
	;; [unrolled: 1-line block ×26, first 2 shown]
	s_waitcnt lgkmcnt(0)
	s_barrier
	s_waitcnt vmcnt(9)
	v_mul_f64 v[0:1], v[90:91], v[50:51]
	v_mul_f64 v[124:125], v[88:89], v[50:51]
	s_waitcnt vmcnt(8)
	v_mul_f64 v[2:3], v[82:83], v[46:47]
	v_mul_f64 v[126:127], v[80:81], v[46:47]
	s_waitcnt vmcnt(5)
	v_mul_f64 v[132:133], v[84:85], v[66:67]
	s_waitcnt vmcnt(4)
	v_mul_f64 v[10:11], v[106:107], v[62:63]
	v_mul_f64 v[8:9], v[86:87], v[66:67]
	;; [unrolled: 1-line block ×3, first 2 shown]
	s_waitcnt vmcnt(2)
	v_mul_f64 v[138:139], v[92:93], v[54:55]
	s_waitcnt vmcnt(0)
	v_mul_f64 v[18:19], v[118:119], v[70:71]
	v_mul_f64 v[150:151], v[116:117], v[70:71]
	;; [unrolled: 1-line block ×4, first 2 shown]
	v_fma_f64 v[88:89], v[88:89], v[48:49], -v[0:1]
	v_fmac_f64_e32 v[124:125], v[90:91], v[48:49]
	v_fmac_f64_e32 v[132:133], v[86:87], v[64:65]
	v_fma_f64 v[86:87], v[104:105], v[60:61], -v[10:11]
	v_fma_f64 v[104:105], v[116:117], v[68:69], -v[18:19]
	v_fmac_f64_e32 v[150:151], v[118:119], v[68:69]
	v_mul_f64 v[4:5], v[98:99], v[42:43]
	v_mul_f64 v[128:129], v[96:97], v[42:43]
	;; [unrolled: 1-line block ×4, first 2 shown]
	v_fma_f64 v[90:91], v[80:81], v[44:45], -v[2:3]
	v_fmac_f64_e32 v[126:127], v[82:83], v[44:45]
	v_fmac_f64_e32 v[138:139], v[94:95], v[52:53]
	v_fma_f64 v[94:95], v[112:113], v[72:73], -v[16:17]
	v_fmac_f64_e32 v[148:149], v[114:115], v[72:73]
	v_add_f64 v[162:163], v[124:125], -v[150:151]
	v_add_f64 v[156:157], v[88:89], -v[104:105]
	v_mul_f64 v[6:7], v[102:103], v[38:39]
	v_mul_f64 v[12:13], v[110:111], v[58:59]
	;; [unrolled: 1-line block ×3, first 2 shown]
	v_fma_f64 v[96:97], v[96:97], v[40:41], -v[4:5]
	v_fmac_f64_e32 v[128:129], v[98:99], v[40:41]
	v_fmac_f64_e32 v[130:131], v[102:103], v[36:37]
	;; [unrolled: 1-line block ×3, first 2 shown]
	v_fma_f64 v[102:103], v[92:93], v[52:53], -v[14:15]
	v_add_f64 v[116:117], v[88:89], v[104:105]
	v_add_f64 v[164:165], v[126:127], -v[148:149]
	v_add_f64 v[172:173], v[124:125], v[150:151]
	v_add_f64 v[160:161], v[90:91], -v[94:95]
	v_mul_f64 v[106:107], v[162:163], s[14:15]
	v_mul_f64 v[112:113], v[156:157], s[14:15]
	v_fma_f64 v[98:99], v[100:101], v[36:37], -v[6:7]
	v_fma_f64 v[100:101], v[108:109], v[56:57], -v[12:13]
	v_fmac_f64_e32 v[136:137], v[110:111], v[56:57]
	v_add_f64 v[118:119], v[90:91], v[94:95]
	v_add_f64 v[176:177], v[126:127], v[148:149]
	v_add_f64 v[168:169], v[128:129], -v[138:139]
	v_mul_f64 v[108:109], v[164:165], s[16:17]
	v_mul_f64 v[114:115], v[160:161], s[16:17]
	v_fma_f64 v[0:1], s[0:1], v[116:117], v[106:107]
	v_fma_f64 v[4:5], v[172:173], s[0:1], -v[112:113]
	v_add_f64 v[174:175], v[96:97], -v[102:103]
	v_add_f64 v[154:155], v[96:97], v[102:103]
	v_add_f64 v[182:183], v[128:129], v[138:139]
	v_mul_f64 v[110:111], v[168:169], s[20:21]
	v_fma_f64 v[2:3], s[12:13], v[118:119], v[108:109]
	v_fma_f64 v[6:7], v[176:177], s[12:13], -v[114:115]
	v_add_f64 v[0:1], v[76:77], v[0:1]
	v_add_f64 v[4:5], v[78:79], v[4:5]
	v_mul_f64 v[152:153], v[174:175], s[20:21]
	v_add_f64 v[202:203], v[130:131], -v[136:137]
	v_fma_f64 v[84:85], v[84:85], v[64:65], -v[8:9]
	v_fma_f64 v[8:9], s[18:19], v[154:155], v[110:111]
	v_add_f64 v[0:1], v[2:3], v[0:1]
	v_add_f64 v[2:3], v[6:7], v[4:5]
	v_fma_f64 v[4:5], v[182:183], s[18:19], -v[152:153]
	v_add_f64 v[178:179], v[98:99], v[100:101]
	v_mul_f64 v[158:159], v[202:203], s[26:27]
	v_add_f64 v[194:195], v[98:99], -v[100:101]
	v_add_f64 v[0:1], v[8:9], v[0:1]
	v_add_f64 v[2:3], v[4:5], v[2:3]
	v_fma_f64 v[4:5], s[24:25], v[178:179], v[158:159]
	v_add_f64 v[8:9], v[130:131], v[136:137]
	v_mul_f64 v[166:167], v[194:195], s[26:27]
	v_add_f64 v[12:13], v[132:133], -v[134:135]
	v_add_f64 v[0:1], v[4:5], v[0:1]
	v_fma_f64 v[4:5], v[8:9], s[24:25], -v[166:167]
	v_add_f64 v[198:199], v[84:85], v[86:87]
	v_mul_f64 v[170:171], v[12:13], s[34:35]
	v_add_f64 v[6:7], v[84:85], -v[86:87]
	v_add_f64 v[2:3], v[4:5], v[2:3]
	v_fma_f64 v[4:5], s[28:29], v[198:199], v[170:171]
	v_add_f64 v[14:15], v[132:133], v[134:135]
	v_mul_f64 v[180:181], v[6:7], s[34:35]
	v_add_f64 v[140:141], v[4:5], v[0:1]
	v_fma_f64 v[0:1], v[14:15], s[28:29], -v[180:181]
	v_mul_f64 v[190:191], v[162:163], s[16:17]
	v_add_f64 v[142:143], v[0:1], v[2:3]
	v_fma_f64 v[0:1], s[12:13], v[116:117], v[190:191]
	v_mul_f64 v[192:193], v[164:165], s[26:27]
	v_add_f64 v[0:1], v[76:77], v[0:1]
	v_fma_f64 v[2:3], s[24:25], v[118:119], v[192:193]
	v_mul_f64 v[200:201], v[156:157], s[16:17]
	v_add_f64 v[0:1], v[2:3], v[0:1]
	v_fma_f64 v[2:3], v[172:173], s[12:13], -v[200:201]
	v_mul_f64 v[204:205], v[160:161], s[26:27]
	v_add_f64 v[2:3], v[78:79], v[2:3]
	v_fma_f64 v[4:5], v[176:177], s[24:25], -v[204:205]
	v_mul_f64 v[196:197], v[168:169], s[30:31]
	v_add_f64 v[2:3], v[4:5], v[2:3]
	v_fma_f64 v[4:5], s[28:29], v[154:155], v[196:197]
	v_add_f64 v[4:5], v[4:5], v[0:1]
	v_mul_f64 v[0:1], v[174:175], s[30:31]
	v_fma_f64 v[10:11], v[182:183], s[28:29], -v[0:1]
	v_mul_f64 v[206:207], v[202:203], s[36:37]
	v_add_f64 v[2:3], v[10:11], v[2:3]
	v_fma_f64 v[10:11], s[18:19], v[178:179], v[206:207]
	v_add_f64 v[10:11], v[10:11], v[4:5]
	v_mul_f64 v[4:5], v[194:195], s[36:37]
	v_fma_f64 v[16:17], v[8:9], s[18:19], -v[4:5]
	v_add_f64 v[16:17], v[16:17], v[2:3]
	v_mul_f64 v[2:3], v[12:13], s[38:39]
	v_fma_f64 v[18:19], s[0:1], v[198:199], v[2:3]
	v_add_f64 v[144:145], v[18:19], v[10:11]
	v_mul_f64 v[10:11], v[6:7], s[38:39]
	v_fma_f64 v[18:19], v[14:15], s[0:1], -v[10:11]
	v_add_f64 v[146:147], v[18:19], v[16:17]
	v_mul_u32_u24_e32 v16, 33, v20
	v_accvgpr_write_b32 a27, v16
	v_mov_b32_e32 v93, 0
	s_and_saveexec_b64 s[22:23], vcc
	s_cbranch_execz .LBB0_5
; %bb.4:
	v_mul_f64 v[16:17], v[116:117], s[0:1]
	v_mul_f64 v[240:241], v[172:173], s[28:29]
	v_accvgpr_write_b32 a45, v17
	v_mul_f64 v[238:239], v[176:177], s[0:1]
	v_fma_f64 v[82:83], s[30:31], v[156:157], v[240:241]
	v_accvgpr_write_b32 a44, v16
	v_mul_f64 v[16:17], v[118:119], s[12:13]
	v_mul_f64 v[24:25], v[182:183], s[24:25]
	s_mov_b32 s43, 0x3fe82f19
	s_mov_b32 s42, s26
	v_fma_f64 v[80:81], s[14:15], v[160:161], v[238:239]
	v_add_f64 v[82:83], v[78:79], v[82:83]
	v_mul_f64 v[250:251], v[162:163], s[34:35]
	v_accvgpr_write_b32 a47, v17
	v_mul_f64 v[20:21], v[8:9], s[12:13]
	v_fma_f64 v[26:27], s[42:43], v[174:175], v[24:25]
	v_add_f64 v[80:81], v[80:81], v[82:83]
	v_mul_f64 v[246:247], v[164:165], s[38:39]
	v_fma_f64 v[252:253], s[28:29], v[116:117], v[250:251]
	v_accvgpr_write_b32 a46, v16
	v_mul_f64 v[16:17], v[14:15], s[18:19]
	v_fma_f64 v[22:23], s[16:17], v[194:195], v[20:21]
	v_add_f64 v[26:27], v[26:27], v[80:81]
	s_mov_b32 s41, 0x3fed1bb4
	s_mov_b32 s40, s16
	v_mul_f64 v[242:243], v[168:169], s[26:27]
	v_fma_f64 v[248:249], s[0:1], v[118:119], v[246:247]
	v_add_f64 v[252:253], v[76:77], v[252:253]
	v_fma_f64 v[18:19], s[36:37], v[6:7], v[16:17]
	v_add_f64 v[22:23], v[22:23], v[26:27]
	v_mul_f64 v[26:27], v[202:203], s[40:41]
	v_fma_f64 v[244:245], s[24:25], v[154:155], v[242:243]
	v_add_f64 v[248:249], v[248:249], v[252:253]
	v_add_f64 v[82:83], v[18:19], v[22:23]
	v_mul_f64 v[22:23], v[12:13], s[20:21]
	v_fma_f64 v[80:81], s[12:13], v[178:179], v[26:27]
	v_add_f64 v[244:245], v[244:245], v[248:249]
	v_fma_f64 v[18:19], s[18:19], v[198:199], v[22:23]
	v_add_f64 v[80:81], v[80:81], v[244:245]
	v_fmac_f64_e32 v[240:241], s[34:35], v[156:157]
	v_add_f64 v[80:81], v[18:19], v[80:81]
	v_fmac_f64_e32 v[238:239], s[38:39], v[160:161]
	;; [unrolled: 2-line block ×5, first 2 shown]
	v_add_f64 v[18:19], v[20:21], v[18:19]
	v_fma_f64 v[20:21], v[178:179], s[12:13], -v[26:27]
	v_fma_f64 v[24:25], v[118:119], s[0:1], -v[246:247]
	;; [unrolled: 1-line block ×3, first 2 shown]
	v_mul_f64 v[246:247], v[172:173], s[24:25]
	v_add_f64 v[18:19], v[16:17], v[18:19]
	v_fma_f64 v[16:17], v[198:199], s[18:19], -v[22:23]
	v_fma_f64 v[22:23], v[154:155], s[24:25], -v[242:243]
	v_add_f64 v[26:27], v[76:77], v[26:27]
	v_mul_f64 v[242:243], v[176:177], s[18:19]
	v_fma_f64 v[248:249], s[42:43], v[156:157], v[246:247]
	v_mul_f64 v[120:121], v[162:163], s[26:27]
	v_add_f64 v[24:25], v[24:25], v[26:27]
	v_mul_f64 v[238:239], v[182:183], s[0:1]
	v_fma_f64 v[244:245], s[20:21], v[160:161], v[242:243]
	v_add_f64 v[248:249], v[78:79], v[248:249]
	v_mov_b32_e32 v92, v254
	v_mul_f64 v[254:255], v[164:165], s[36:37]
	v_fma_f64 v[188:189], s[24:25], v[116:117], v[120:121]
	v_add_f64 v[22:23], v[22:23], v[24:25]
	v_mul_f64 v[26:27], v[8:9], s[28:29]
	v_fma_f64 v[240:241], s[38:39], v[174:175], v[238:239]
	v_add_f64 v[244:245], v[244:245], v[248:249]
	;; [unrolled: 3-line block ×3, first 2 shown]
	v_add_f64 v[20:21], v[20:21], v[22:23]
	v_mul_f64 v[24:25], v[14:15], s[12:13]
	v_fma_f64 v[22:23], s[30:31], v[194:195], v[26:27]
	v_add_f64 v[240:241], v[240:241], v[244:245]
	v_mul_f64 v[244:245], v[202:203], s[34:35]
	v_fma_f64 v[252:253], s[0:1], v[154:155], v[250:251]
	v_add_f64 v[34:35], v[34:35], v[188:189]
	v_add_f64 v[16:17], v[16:17], v[20:21]
	v_fma_f64 v[20:21], s[16:17], v[6:7], v[24:25]
	v_add_f64 v[22:23], v[22:23], v[240:241]
	v_mul_f64 v[240:241], v[12:13], s[40:41]
	v_fma_f64 v[248:249], s[28:29], v[178:179], v[244:245]
	v_add_f64 v[34:35], v[252:253], v[34:35]
	v_add_f64 v[22:23], v[20:21], v[22:23]
	v_fma_f64 v[20:21], s[12:13], v[198:199], v[240:241]
	v_add_f64 v[34:35], v[248:249], v[34:35]
	v_fmac_f64_e32 v[246:247], s[26:27], v[156:157]
	v_add_f64 v[20:21], v[20:21], v[34:35]
	v_fmac_f64_e32 v[242:243], s[36:37], v[160:161]
	v_add_f64 v[34:35], v[78:79], v[246:247]
	v_fmac_f64_e32 v[238:239], s[14:15], v[174:175]
	v_add_f64 v[34:35], v[242:243], v[34:35]
	v_fma_f64 v[120:121], v[116:117], s[24:25], -v[120:121]
	v_add_f64 v[34:35], v[238:239], v[34:35]
	v_fma_f64 v[238:239], v[118:119], s[18:19], -v[254:255]
	v_add_f64 v[120:121], v[76:77], v[120:121]
	v_fmac_f64_e32 v[26:27], s[34:35], v[194:195]
	v_fma_f64 v[188:189], v[154:155], s[0:1], -v[250:251]
	v_add_f64 v[120:121], v[238:239], v[120:121]
	v_mul_f64 v[30:31], v[172:173], s[0:1]
	v_mul_f64 v[186:187], v[172:173], s[12:13]
	v_fmac_f64_e32 v[24:25], s[40:41], v[6:7]
	v_add_f64 v[26:27], v[26:27], v[34:35]
	v_fma_f64 v[34:35], v[178:179], s[28:29], -v[244:245]
	v_add_f64 v[120:121], v[188:189], v[120:121]
	v_mul_f64 v[172:173], v[172:173], s[18:19]
	v_mul_f64 v[208:209], v[176:177], s[12:13]
	;; [unrolled: 1-line block ×3, first 2 shown]
	v_add_f64 v[26:27], v[24:25], v[26:27]
	v_fma_f64 v[24:25], v[198:199], s[12:13], -v[240:241]
	v_add_f64 v[34:35], v[34:35], v[120:121]
	v_mul_f64 v[176:177], v[176:177], s[28:29]
	v_fma_f64 v[240:241], s[36:37], v[156:157], v[172:173]
	v_mul_f64 v[216:217], v[182:183], s[18:19]
	v_mul_f64 v[220:221], v[182:183], s[28:29]
	v_add_f64 v[24:25], v[24:25], v[34:35]
	v_mul_f64 v[34:35], v[14:15], s[24:25]
	v_mul_f64 v[182:183], v[182:183], s[12:13]
	v_fma_f64 v[238:239], s[34:35], v[160:161], v[176:177]
	v_add_f64 v[240:241], v[78:79], v[240:241]
	v_fmac_f64_e32 v[172:173], s[20:21], v[156:157]
	v_mul_f64 v[224:225], v[8:9], s[24:25]
	v_mul_f64 v[228:229], v[8:9], s[18:19]
	;; [unrolled: 1-line block ×4, first 2 shown]
	v_fma_f64 v[14:15], s[42:43], v[6:7], v[34:35]
	v_mul_f64 v[8:9], v[8:9], s[0:1]
	v_fma_f64 v[188:189], s[16:17], v[174:175], v[182:183]
	v_add_f64 v[238:239], v[238:239], v[240:241]
	v_fmac_f64_e32 v[34:35], s[26:27], v[6:7]
	v_fmac_f64_e32 v[176:177], s[30:31], v[160:161]
	v_add_f64 v[6:7], v[78:79], v[172:173]
	v_fma_f64 v[120:121], s[38:39], v[194:195], v[8:9]
	v_add_f64 v[188:189], v[188:189], v[238:239]
	v_mul_f64 v[162:163], v[162:163], s[20:21]
	v_fmac_f64_e32 v[182:183], s[40:41], v[174:175]
	v_add_f64 v[6:7], v[176:177], v[6:7]
	v_mul_f64 v[32:33], v[116:117], s[12:13]
	v_add_f64 v[120:121], v[120:121], v[188:189]
	v_mul_f64 v[164:165], v[164:165], s[30:31]
	v_fma_f64 v[242:243], s[18:19], v[116:117], v[162:163]
	v_fmac_f64_e32 v[8:9], s[14:15], v[194:195]
	v_add_f64 v[6:7], v[182:183], v[6:7]
	v_fma_f64 v[116:117], v[116:117], s[18:19], -v[162:163]
	v_mul_f64 v[210:211], v[118:119], s[24:25]
	v_add_f64 v[14:15], v[14:15], v[120:121]
	v_mul_f64 v[120:121], v[12:13], s[26:27]
	v_mul_f64 v[168:169], v[168:169], s[40:41]
	v_fma_f64 v[240:241], s[28:29], v[118:119], v[164:165]
	v_add_f64 v[6:7], v[8:9], v[6:7]
	v_fma_f64 v[118:119], v[118:119], s[28:29], -v[164:165]
	v_add_f64 v[116:117], v[76:77], v[116:117]
	v_fma_f64 v[12:13], s[24:25], v[198:199], v[120:121]
	v_mul_f64 v[188:189], v[202:203], s[14:15]
	v_add_f64 v[8:9], v[34:35], v[6:7]
	v_fma_f64 v[6:7], v[198:199], s[24:25], -v[120:121]
	v_fma_f64 v[120:121], v[154:155], s[12:13], -v[168:169]
	v_add_f64 v[116:117], v[118:119], v[116:117]
	v_fma_f64 v[34:35], v[178:179], s[0:1], -v[188:189]
	v_add_f64 v[116:117], v[120:121], v[116:117]
	v_add_f64 v[34:35], v[34:35], v[116:117]
	;; [unrolled: 1-line block ×10, first 2 shown]
	v_add_f64 v[32:33], v[32:33], -v[190:191]
	v_mul_f64 v[218:219], v[154:155], s[28:29]
	v_add_f64 v[10:11], v[10:11], v[236:237]
	v_add_f64 v[0:1], v[4:5], v[0:1]
	v_add_f64 v[34:35], v[210:211], -v[192:193]
	v_add_f64 v[32:33], v[76:77], v[32:33]
	v_add_f64 v[30:31], v[112:113], v[30:31]
	;; [unrolled: 1-line block ×3, first 2 shown]
	v_add_f64 v[10:11], v[218:219], -v[196:197]
	v_add_f64 v[32:33], v[34:35], v[32:33]
	v_add_f64 v[34:35], v[114:115], v[208:209]
	;; [unrolled: 1-line block ×6, first 2 shown]
	v_accvgpr_read_b32 v34, a44
	v_mul_f64 v[226:227], v[178:179], s[18:19]
	v_mul_f64 v[234:235], v[198:199], s[0:1]
	v_add_f64 v[30:31], v[32:33], v[30:31]
	v_accvgpr_read_b32 v32, a46
	v_accvgpr_read_b32 v35, a45
	v_add_f64 v[0:1], v[234:235], -v[2:3]
	v_add_f64 v[2:3], v[226:227], -v[206:207]
	v_accvgpr_read_b32 v33, a47
	v_add_f64 v[34:35], v[34:35], -v[106:107]
	v_mul_f64 v[214:215], v[154:155], s[18:19]
	v_add_f64 v[2:3], v[2:3], v[10:11]
	v_add_f64 v[10:11], v[166:167], v[224:225]
	v_add_f64 v[32:33], v[32:33], -v[108:109]
	v_add_f64 v[34:35], v[76:77], v[34:35]
	v_mul_f64 v[222:223], v[178:179], s[24:25]
	v_add_f64 v[2:3], v[0:1], v[2:3]
	v_add_f64 v[0:1], v[180:181], v[232:233]
	;; [unrolled: 1-line block ×3, first 2 shown]
	v_add_f64 v[30:31], v[214:215], -v[110:111]
	v_add_f64 v[32:33], v[32:33], v[34:35]
	v_mul_f64 v[230:231], v[198:199], s[28:29]
	v_add_f64 v[112:113], v[0:1], v[10:11]
	v_add_f64 v[10:11], v[222:223], -v[158:159]
	v_add_f64 v[30:31], v[30:31], v[32:33]
	v_add_f64 v[0:1], v[230:231], -v[170:171]
	v_add_f64 v[10:11], v[10:11], v[30:31]
	v_add_f64 v[110:111], v[0:1], v[10:11]
	;; [unrolled: 1-line block ×21, first 2 shown]
	v_fma_f64 v[238:239], s[12:13], v[154:155], v[168:169]
	v_add_f64 v[240:241], v[240:241], v[242:243]
	v_add_f64 v[0:1], v[0:1], v[94:95]
	v_fma_f64 v[202:203], s[0:1], v[178:179], v[188:189]
	v_add_f64 v[238:239], v[238:239], v[240:241]
	v_add_f64 v[76:77], v[0:1], v[104:105]
	v_accvgpr_read_b32 v0, a1
	v_accvgpr_read_b32 v1, a27
	v_mov_b32_e32 v254, v92
	v_add_f64 v[202:203], v[202:203], v[238:239]
	v_add_lshl_u32 v0, v1, v0, 4
	v_add_f64 v[12:13], v[12:13], v[202:203]
	ds_write_b128 v0, v[76:79]
	ds_write_b128 v0, v[110:113] offset:48
	ds_write_b128 v0, v[2:5] offset:96
	;; [unrolled: 1-line block ×10, first 2 shown]
.LBB0_5:
	s_or_b64 exec, exec, s[22:23]
	s_movk_i32 s0, 0xf9
	v_mul_lo_u16_sdwa v0, v254, s0 dst_sel:DWORD dst_unused:UNUSED_PAD src0_sel:BYTE_0 src1_sel:DWORD
	v_lshrrev_b16_e32 v112, 13, v0
	v_mul_lo_u16_e32 v0, 33, v112
	v_sub_u16_e32 v0, v254, v0
	v_and_b32_e32 v113, 0xff, v0
	v_lshlrev_b32_e32 v0, 5, v113
	s_waitcnt lgkmcnt(0)
	s_barrier
	global_load_dwordx4 v[76:79], v0, s[10:11] offset:496
	global_load_dwordx4 v[80:83], v0, s[10:11] offset:480
	v_mul_lo_u16_sdwa v0, v122, s0 dst_sel:DWORD dst_unused:UNUSED_PAD src0_sel:BYTE_0 src1_sel:DWORD
	v_lshrrev_b16_e32 v114, 13, v0
	v_mul_lo_u16_e32 v0, 33, v114
	v_sub_u16_e32 v0, v122, v0
	v_and_b32_e32 v115, 0xff, v0
	v_lshlrev_b32_e32 v0, 5, v115
	s_mov_b32 s0, 0xf83f
	global_load_dwordx4 v[84:87], v0, s[10:11] offset:496
	global_load_dwordx4 v[88:91], v0, s[10:11] offset:480
	v_mul_u32_u24_sdwa v0, v28, s0 dst_sel:DWORD dst_unused:UNUSED_PAD src0_sel:WORD_0 src1_sel:DWORD
	v_lshrrev_b32_e32 v116, 21, v0
	v_mul_lo_u16_e32 v0, 33, v116
	v_sub_u16_e32 v117, v28, v0
	v_lshlrev_b16_e32 v92, 5, v117
	v_lshl_add_u64 v[0:1], s[10:11], 0, v[92:93]
	global_load_dwordx4 v[100:103], v[0:1], off offset:480
	global_load_dwordx4 v[96:99], v[0:1], off offset:496
	ds_read_b128 v[152:155], v184
	ds_read_b128 v[156:159], v184 offset:1936
	ds_read_b128 v[0:3], v184 offset:11616
	;; [unrolled: 1-line block ×8, first 2 shown]
	s_mov_b32 s0, 0xe8584caa
	s_mov_b32 s1, 0x3febb67a
	;; [unrolled: 1-line block ×4, first 2 shown]
	s_waitcnt lgkmcnt(0)
	s_barrier
	s_waitcnt vmcnt(5)
	v_mul_f64 v[28:29], v[2:3], v[78:79]
	s_waitcnt vmcnt(4)
	v_mul_f64 v[24:25], v[10:11], v[82:83]
	v_mul_f64 v[26:27], v[8:9], v[82:83]
	;; [unrolled: 1-line block ×3, first 2 shown]
	v_fma_f64 v[8:9], v[8:9], v[80:81], -v[24:25]
	v_fma_f64 v[0:1], v[0:1], v[76:77], -v[28:29]
	v_fmac_f64_e32 v[30:31], v[2:3], v[76:77]
	v_fmac_f64_e32 v[26:27], v[10:11], v[80:81]
	s_waitcnt vmcnt(3)
	v_mul_f64 v[94:95], v[4:5], v[86:87]
	s_waitcnt vmcnt(2)
	v_mul_f64 v[32:33], v[14:15], v[90:91]
	v_mul_f64 v[34:35], v[12:13], v[90:91]
	;; [unrolled: 1-line block ×3, first 2 shown]
	v_fma_f64 v[2:3], v[12:13], v[88:89], -v[32:33]
	v_fmac_f64_e32 v[94:95], v[6:7], v[84:85]
	v_add_f64 v[12:13], v[152:153], v[8:9]
	s_waitcnt vmcnt(1)
	v_mul_f64 v[104:105], v[18:19], v[102:103]
	s_waitcnt vmcnt(0)
	v_mul_f64 v[108:109], v[22:23], v[98:99]
	v_fma_f64 v[6:7], v[16:17], v[100:101], -v[104:105]
	v_mul_f64 v[106:107], v[16:17], v[102:103]
	v_mul_f64 v[110:111], v[20:21], v[98:99]
	v_fmac_f64_e32 v[34:35], v[14:15], v[88:89]
	v_fma_f64 v[10:11], v[20:21], v[96:97], -v[108:109]
	v_add_f64 v[14:15], v[8:9], v[0:1]
	v_add_f64 v[8:9], v[8:9], -v[0:1]
	v_add_f64 v[148:149], v[12:13], v[0:1]
	v_add_f64 v[0:1], v[160:161], v[6:7]
	v_fmac_f64_e32 v[106:107], v[18:19], v[100:101]
	v_fmac_f64_e32 v[110:111], v[22:23], v[96:97]
	v_add_f64 v[176:177], v[0:1], v[10:11]
	v_add_f64 v[0:1], v[6:7], v[10:11]
	v_fmac_f64_e32 v[160:161], -0.5, v[0:1]
	v_add_f64 v[0:1], v[106:107], -v[110:111]
	v_fma_f64 v[180:181], s[0:1], v[0:1], v[160:161]
	v_fmac_f64_e32 v[160:161], s[12:13], v[0:1]
	v_add_f64 v[0:1], v[162:163], v[106:107]
	v_add_f64 v[178:179], v[0:1], v[110:111]
	;; [unrolled: 1-line block ×4, first 2 shown]
	v_fmac_f64_e32 v[162:163], -0.5, v[0:1]
	v_add_f64 v[0:1], v[6:7], -v[10:11]
	v_fma_f64 v[4:5], v[4:5], v[84:85], -v[92:93]
	v_add_f64 v[16:17], v[26:27], -v[30:31]
	v_add_f64 v[18:19], v[154:155], v[26:27]
	v_fmac_f64_e32 v[152:153], -0.5, v[14:15]
	v_fmac_f64_e32 v[154:155], -0.5, v[20:21]
	v_fma_f64 v[182:183], s[12:13], v[0:1], v[162:163]
	v_fmac_f64_e32 v[162:163], s[0:1], v[0:1]
	v_mul_u32_u24_e32 v0, 0x63, v112
	v_add_f64 v[24:25], v[2:3], v[4:5]
	v_add_f64 v[32:33], v[34:35], v[94:95]
	v_add_f64 v[150:151], v[18:19], v[30:31]
	v_fma_f64 v[164:165], s[0:1], v[16:17], v[152:153]
	v_fmac_f64_e32 v[152:153], s[12:13], v[16:17]
	v_fma_f64 v[166:167], s[12:13], v[8:9], v[154:155]
	v_fmac_f64_e32 v[154:155], s[0:1], v[8:9]
	v_add_lshl_u32 v0, v0, v113, 4
	v_add_f64 v[22:23], v[156:157], v[2:3]
	v_add_f64 v[26:27], v[34:35], -v[94:95]
	v_add_f64 v[28:29], v[158:159], v[34:35]
	v_add_f64 v[2:3], v[2:3], -v[4:5]
	v_fmac_f64_e32 v[156:157], -0.5, v[24:25]
	v_fmac_f64_e32 v[158:159], -0.5, v[32:33]
	ds_write_b128 v0, v[148:151]
	ds_write_b128 v0, v[164:167] offset:528
	v_accvgpr_write_b32 a43, v0
	ds_write_b128 v0, v[152:155] offset:1056
	v_mul_u32_u24_e32 v0, 0x63, v114
	v_add_f64 v[168:169], v[22:23], v[4:5]
	v_add_f64 v[170:171], v[28:29], v[94:95]
	v_fma_f64 v[172:173], s[0:1], v[26:27], v[156:157]
	v_fmac_f64_e32 v[156:157], s[12:13], v[26:27]
	v_fma_f64 v[174:175], s[12:13], v[2:3], v[158:159]
	v_fmac_f64_e32 v[158:159], s[0:1], v[2:3]
	s_movk_i32 s0, 0x63
	v_add_lshl_u32 v0, v0, v115, 4
	ds_write_b128 v0, v[168:171]
	ds_write_b128 v0, v[172:175] offset:528
	v_accvgpr_write_b32 a60, v0
	ds_write_b128 v0, v[156:159] offset:1056
	v_mad_legacy_u16 v0, v116, s0, v117
	v_lshlrev_b32_e32 v185, 4, v0
	ds_write_b128 v185, v[176:179]
	ds_write_b128 v185, v[180:183] offset:528
	ds_write_b128 v185, v[160:163] offset:1056
	s_waitcnt lgkmcnt(0)
	s_barrier
	s_and_saveexec_b64 s[0:1], vcc
	s_cbranch_execz .LBB0_7
; %bb.6:
	ds_read_b128 v[148:151], v184
	ds_read_b128 v[164:167], v184 offset:1584
	ds_read_b128 v[152:155], v184 offset:3168
	;; [unrolled: 1-line block ×10, first 2 shown]
.LBB0_7:
	s_or_b64 exec, exec, s[0:1]
	v_add_u32_e32 v0, 0xffffff9d, v254
	v_cndmask_b32_e32 v0, v0, v254, vcc
	v_mul_hi_i32_i24_e32 v1, 0xa0, v0
	v_mul_i32_i24_e32 v0, 0xa0, v0
	v_lshl_add_u64 v[0:1], s[10:11], 0, v[0:1]
	global_load_dwordx4 v[20:23], v[0:1], off offset:1536
	global_load_dwordx4 v[24:27], v[0:1], off offset:1552
	;; [unrolled: 1-line block ×10, first 2 shown]
	s_mov_b32 s12, 0xf8bb580b
	s_mov_b32 s0, 0x8764f0ba
	;; [unrolled: 1-line block ×23, first 2 shown]
	v_accvgpr_write_b32 a0, v254
	s_mov_b32 s37, 0x3fe14ced
	s_mov_b32 s36, s12
	s_waitcnt vmcnt(9) lgkmcnt(9)
	v_mul_f64 v[190:191], v[164:165], v[22:23]
	v_mul_f64 v[0:1], v[166:167], v[22:23]
	s_waitcnt vmcnt(8) lgkmcnt(8)
	v_mul_f64 v[192:193], v[152:153], v[26:27]
	s_waitcnt vmcnt(6) lgkmcnt(6)
	v_mul_f64 v[196:197], v[172:173], v[34:35]
	v_fmac_f64_e32 v[190:191], v[166:167], v[20:21]
	v_mul_f64 v[2:3], v[154:155], v[26:27]
	v_mul_f64 v[6:7], v[174:175], v[34:35]
	s_waitcnt vmcnt(5) lgkmcnt(5)
	v_mul_f64 v[198:199], v[156:157], v[138:139]
	s_waitcnt vmcnt(1) lgkmcnt(1)
	;; [unrolled: 2-line block ×3, first 2 shown]
	v_mul_f64 v[208:209], v[140:141], v[94:95]
	v_mul_f64 v[18:19], v[142:143], v[94:95]
	v_fmac_f64_e32 v[208:209], v[142:143], v[92:93]
	v_mul_f64 v[10:11], v[178:179], v[134:135]
	v_mul_f64 v[204:205], v[160:161], v[106:107]
	;; [unrolled: 1-line block ×3, first 2 shown]
	v_fma_f64 v[164:165], v[164:165], v[20:21], -v[0:1]
	v_fmac_f64_e32 v[192:193], v[154:155], v[24:25]
	v_fmac_f64_e32 v[196:197], v[174:175], v[32:33]
	;; [unrolled: 1-line block ×3, first 2 shown]
	v_fma_f64 v[174:175], v[140:141], v[92:93], -v[18:19]
	v_add_f64 v[230:231], v[190:191], -v[208:209]
	v_mul_f64 v[8:9], v[158:159], v[138:139]
	v_mul_f64 v[200:201], v[176:177], v[134:135]
	;; [unrolled: 1-line block ×3, first 2 shown]
	v_fma_f64 v[166:167], v[152:153], v[24:25], -v[2:3]
	v_fmac_f64_e32 v[198:199], v[158:159], v[136:137]
	v_fma_f64 v[158:159], v[176:177], v[132:133], -v[10:11]
	v_fmac_f64_e32 v[204:205], v[162:163], v[104:105]
	v_fma_f64 v[162:163], v[144:145], v[124:125], -v[16:17]
	v_add_f64 v[214:215], v[164:165], v[174:175]
	v_add_f64 v[234:235], v[192:193], -v[206:207]
	v_mul_f64 v[176:177], v[230:231], s[12:13]
	v_mul_f64 v[4:5], v[170:171], v[30:31]
	v_fmac_f64_e32 v[200:201], v[178:179], v[132:133]
	v_add_f64 v[222:223], v[164:165], -v[174:175]
	v_add_f64 v[216:217], v[166:167], v[162:163]
	v_mul_f64 v[210:211], v[230:231], s[18:19]
	v_mul_f64 v[178:179], v[234:235], s[18:19]
	v_fma_f64 v[0:1], s[0:1], v[214:215], v[176:177]
	v_mul_f64 v[194:195], v[168:169], v[30:31]
	v_mul_f64 v[12:13], v[182:183], v[130:131]
	v_fma_f64 v[168:169], v[168:169], v[28:29], -v[4:5]
	v_fma_f64 v[156:157], v[156:157], v[136:137], -v[8:9]
	v_add_f64 v[238:239], v[190:191], v[208:209]
	v_add_f64 v[224:225], v[166:167], -v[162:163]
	v_mul_f64 v[212:213], v[222:223], s[18:19]
	v_fma_f64 v[4:5], s[10:11], v[214:215], v[210:211]
	v_fma_f64 v[8:9], s[10:11], v[216:217], v[178:179]
	v_add_f64 v[0:1], v[148:149], v[0:1]
	v_mul_f64 v[220:221], v[234:235], s[22:23]
	v_fmac_f64_e32 v[194:195], v[170:171], v[28:29]
	v_fma_f64 v[170:171], v[172:173], v[32:33], -v[6:7]
	v_fma_f64 v[172:173], v[180:181], v[128:129], -v[12:13]
	v_add_f64 v[244:245], v[192:193], v[206:207]
	v_fma_f64 v[6:7], v[238:239], s[10:11], -v[212:213]
	v_add_f64 v[4:5], v[148:149], v[4:5]
	v_add_f64 v[12:13], v[8:9], v[0:1]
	v_mul_f64 v[228:229], v[224:225], s[22:23]
	v_fma_f64 v[0:1], s[14:15], v[216:217], v[220:221]
	v_mul_f64 v[202:203], v[180:181], v[130:131]
	v_mul_f64 v[180:181], v[222:223], s[12:13]
	v_add_f64 v[6:7], v[150:151], v[6:7]
	v_add_f64 v[4:5], v[0:1], v[4:5]
	v_fma_f64 v[0:1], v[244:245], s[14:15], -v[228:229]
	v_fmac_f64_e32 v[202:203], v[182:183], v[128:129]
	v_fma_f64 v[160:161], v[160:161], v[104:105], -v[14:15]
	v_mul_f64 v[182:183], v[224:225], s[18:19]
	v_fma_f64 v[2:3], v[238:239], s[0:1], -v[180:181]
	v_add_f64 v[6:7], v[0:1], v[6:7]
	v_add_f64 v[0:1], v[194:195], -v[204:205]
	v_fma_f64 v[10:11], v[244:245], s[10:11], -v[182:183]
	v_add_f64 v[2:3], v[150:151], v[2:3]
	v_add_f64 v[236:237], v[168:169], v[160:161]
	v_add_f64 v[246:247], v[168:169], -v[160:161]
	v_mul_f64 v[218:219], v[0:1], s[24:25]
	v_add_f64 v[2:3], v[10:11], v[2:3]
	v_add_f64 v[8:9], v[194:195], v[204:205]
	v_mul_f64 v[226:227], v[246:247], s[24:25]
	v_fma_f64 v[10:11], s[20:21], v[236:237], v[218:219]
	v_add_f64 v[12:13], v[10:11], v[12:13]
	v_fma_f64 v[10:11], v[8:9], s[20:21], -v[226:227]
	v_mul_f64 v[240:241], v[0:1], s[28:29]
	v_add_f64 v[14:15], v[10:11], v[2:3]
	v_mul_f64 v[250:251], v[246:247], s[28:29]
	v_fma_f64 v[2:3], s[26:27], v[236:237], v[240:241]
	v_add_f64 v[18:19], v[2:3], v[4:5]
	v_fma_f64 v[2:3], v[8:9], s[26:27], -v[250:251]
	v_add_f64 v[16:17], v[196:197], -v[202:203]
	v_accvgpr_write_b32 a47, v23
	v_add_f64 v[6:7], v[2:3], v[6:7]
	v_add_f64 v[2:3], v[170:171], v[172:173]
	v_add_f64 v[10:11], v[170:171], -v[172:173]
	v_mul_f64 v[232:233], v[16:17], s[22:23]
	v_accvgpr_write_b32 a46, v22
	v_accvgpr_write_b32 a45, v21
	;; [unrolled: 1-line block ×4, first 2 shown]
	v_add_f64 v[20:21], v[196:197], v[202:203]
	v_mul_f64 v[242:243], v[10:11], s[22:23]
	v_fma_f64 v[4:5], s[14:15], v[2:3], v[232:233]
	v_accvgpr_write_b32 a50, v26
	v_accvgpr_write_b32 a49, v25
	;; [unrolled: 1-line block ×3, first 2 shown]
	v_add_f64 v[26:27], v[4:5], v[12:13]
	v_fma_f64 v[4:5], v[20:21], s[14:15], -v[242:243]
	v_mul_f64 v[252:253], v[16:17], s[30:31]
	v_accvgpr_write_b32 a55, v31
	v_add_f64 v[14:15], v[4:5], v[14:15]
	v_mul_f64 v[4:5], v[10:11], s[30:31]
	v_fma_f64 v[12:13], s[20:21], v[2:3], v[252:253]
	v_accvgpr_write_b32 a54, v30
	v_accvgpr_write_b32 a53, v29
	;; [unrolled: 1-line block ×3, first 2 shown]
	v_add_f64 v[28:29], v[12:13], v[18:19]
	v_fma_f64 v[12:13], v[20:21], s[20:21], -v[4:5]
	v_add_f64 v[22:23], v[198:199], -v[200:201]
	v_add_f64 v[30:31], v[12:13], v[6:7]
	v_add_f64 v[12:13], v[156:157], v[158:159]
	v_add_f64 v[18:19], v[156:157], -v[158:159]
	v_mul_f64 v[248:249], v[22:23], s[34:35]
	v_add_f64 v[24:25], v[198:199], v[200:201]
	v_mul_f64 v[254:255], v[18:19], s[34:35]
	v_fma_f64 v[6:7], s[26:27], v[12:13], v[248:249]
	v_add_f64 v[140:141], v[6:7], v[26:27]
	v_fma_f64 v[6:7], v[24:25], s[26:27], -v[254:255]
	v_add_f64 v[142:143], v[6:7], v[14:15]
	v_mul_f64 v[6:7], v[22:23], s[36:37]
	v_mul_f64 v[14:15], v[18:19], s[36:37]
	v_fma_f64 v[26:27], s[0:1], v[12:13], v[6:7]
	v_accvgpr_write_b32 a59, v35
	v_accvgpr_write_b32 a66, v104
	;; [unrolled: 1-line block ×3, first 2 shown]
	v_add_f64 v[144:145], v[26:27], v[28:29]
	v_fma_f64 v[26:27], v[24:25], s[0:1], -v[14:15]
	v_accvgpr_write_b32 a58, v34
	v_accvgpr_write_b32 a57, v33
	;; [unrolled: 1-line block ×9, first 2 shown]
	v_add_f64 v[146:147], v[26:27], v[30:31]
	s_and_saveexec_b64 s[16:17], vcc
	s_cbranch_execz .LBB0_9
; %bb.8:
	v_mul_f64 v[26:27], v[214:215], s[0:1]
	v_accvgpr_write_b32 a71, v27
	v_accvgpr_write_b32 a70, v26
	v_mul_f64 v[26:27], v[238:239], s[0:1]
	v_accvgpr_write_b32 a77, v27
	v_accvgpr_write_b32 a76, v26
	;; [unrolled: 3-line block ×17, first 2 shown]
	v_mul_f64 v[26:27], v[24:25], s[26:27]
	v_mul_f64 v[92:93], v[238:239], s[26:27]
	v_accvgpr_write_b32 a93, v27
	v_mul_f64 v[188:189], v[244:245], s[0:1]
	v_fma_f64 v[94:95], s[28:29], v[222:223], v[92:93]
	v_accvgpr_write_b32 a92, v26
	v_mul_f64 v[26:27], v[12:13], s[0:1]
	v_mul_f64 v[186:187], v[8:9], s[14:15]
	s_mov_b32 s41, 0x3fe82f19
	s_mov_b32 s40, s22
	v_fma_f64 v[154:155], s[12:13], v[224:225], v[188:189]
	v_add_f64 v[94:95], v[150:151], v[94:95]
	v_mul_f64 v[112:113], v[230:231], s[34:35]
	v_accvgpr_write_b32 a103, v27
	v_mul_f64 v[30:31], v[20:21], s[10:11]
	v_fma_f64 v[152:153], s[40:41], v[246:247], v[186:187]
	v_add_f64 v[94:95], v[154:155], v[94:95]
	v_mul_f64 v[108:109], v[234:235], s[36:37]
	v_fma_f64 v[114:115], s[26:27], v[214:215], v[112:113]
	v_accvgpr_write_b32 a102, v26
	v_mul_f64 v[26:27], v[24:25], s[20:21]
	v_fma_f64 v[32:33], s[18:19], v[10:11], v[30:31]
	v_add_f64 v[94:95], v[152:153], v[94:95]
	s_mov_b32 s39, 0x3fed1bb4
	s_mov_b32 s38, s18
	v_mul_f64 v[104:105], v[0:1], s[22:23]
	v_fma_f64 v[110:111], s[0:1], v[216:217], v[108:109]
	v_add_f64 v[114:115], v[148:149], v[114:115]
	v_fma_f64 v[28:29], s[30:31], v[18:19], v[26:27]
	v_add_f64 v[32:33], v[32:33], v[94:95]
	v_mul_f64 v[94:95], v[16:17], s[38:39]
	v_fma_f64 v[106:107], s[14:15], v[236:237], v[104:105]
	v_add_f64 v[110:111], v[110:111], v[114:115]
	v_add_f64 v[154:155], v[28:29], v[32:33]
	v_mul_f64 v[32:33], v[22:23], s[24:25]
	v_fma_f64 v[152:153], s[10:11], v[2:3], v[94:95]
	v_add_f64 v[106:107], v[106:107], v[110:111]
	v_fma_f64 v[28:29], s[20:21], v[12:13], v[32:33]
	v_add_f64 v[106:107], v[152:153], v[106:107]
	v_fmac_f64_e32 v[92:93], s[34:35], v[222:223]
	v_add_f64 v[152:153], v[28:29], v[106:107]
	v_fmac_f64_e32 v[188:189], s[36:37], v[224:225]
	;; [unrolled: 2-line block ×4, first 2 shown]
	v_add_f64 v[28:29], v[186:187], v[28:29]
	v_add_f64 v[28:29], v[30:31], v[28:29]
	v_fma_f64 v[30:31], v[2:3], s[10:11], -v[94:95]
	v_fma_f64 v[94:95], v[214:215], s[26:27], -v[112:113]
	v_mul_f64 v[112:113], v[238:239], s[14:15]
	v_fmac_f64_e32 v[26:27], s[24:25], v[18:19]
	v_fma_f64 v[92:93], v[216:217], s[0:1], -v[108:109]
	v_add_f64 v[94:95], v[148:149], v[94:95]
	v_mul_f64 v[108:109], v[244:245], s[20:21]
	v_fma_f64 v[114:115], s[40:41], v[222:223], v[112:113]
	v_fmac_f64_e32 v[112:113], s[22:23], v[222:223]
	v_add_f64 v[28:29], v[26:27], v[28:29]
	v_fma_f64 v[26:27], v[12:13], s[20:21], -v[32:33]
	v_fma_f64 v[32:33], v[236:237], s[14:15], -v[104:105]
	v_add_f64 v[92:93], v[92:93], v[94:95]
	v_mul_f64 v[104:105], v[8:9], s[0:1]
	v_fma_f64 v[110:111], s[24:25], v[224:225], v[108:109]
	v_add_f64 v[114:115], v[150:151], v[114:115]
	v_mul_f64 v[120:121], v[230:231], s[22:23]
	v_fmac_f64_e32 v[108:109], s[30:31], v[224:225]
	v_add_f64 v[112:113], v[150:151], v[112:113]
	v_add_f64 v[32:33], v[32:33], v[92:93]
	v_mul_f64 v[94:95], v[20:21], s[26:27]
	v_fma_f64 v[106:107], s[36:37], v[246:247], v[104:105]
	v_add_f64 v[110:111], v[110:111], v[114:115]
	v_mul_f64 v[116:117], v[234:235], s[30:31]
	v_accvgpr_write_b32 a40, v123
	v_fma_f64 v[122:123], s[14:15], v[214:215], v[120:121]
	v_fmac_f64_e32 v[104:105], s[12:13], v[246:247]
	v_add_f64 v[108:109], v[108:109], v[112:113]
	v_add_f64 v[30:31], v[30:31], v[32:33]
	v_mul_f64 v[92:93], v[24:25], s[10:11]
	v_fma_f64 v[32:33], s[28:29], v[10:11], v[94:95]
	v_add_f64 v[106:107], v[106:107], v[110:111]
	v_mul_f64 v[186:187], v[0:1], s[12:13]
	v_fma_f64 v[118:119], s[20:21], v[216:217], v[116:117]
	v_add_f64 v[122:123], v[148:149], v[122:123]
	v_fmac_f64_e32 v[94:95], s[34:35], v[10:11]
	v_add_f64 v[104:105], v[104:105], v[108:109]
	v_add_f64 v[26:27], v[26:27], v[30:31]
	v_fma_f64 v[30:31], s[18:19], v[18:19], v[92:93]
	v_add_f64 v[32:33], v[32:33], v[106:107]
	v_mul_f64 v[106:107], v[22:23], s[38:39]
	v_fma_f64 v[188:189], s[0:1], v[236:237], v[186:187]
	v_add_f64 v[118:119], v[118:119], v[122:123]
	v_fmac_f64_e32 v[92:93], s[38:39], v[18:19]
	v_add_f64 v[94:95], v[94:95], v[104:105]
	v_fma_f64 v[108:109], v[214:215], s[14:15], -v[120:121]
	v_add_f64 v[32:33], v[30:31], v[32:33]
	v_fma_f64 v[30:31], s[10:11], v[12:13], v[106:107]
	v_mul_f64 v[110:111], v[16:17], s[34:35]
	v_add_f64 v[118:119], v[188:189], v[118:119]
	v_add_f64 v[188:189], v[92:93], v[94:95]
	v_fma_f64 v[92:93], v[12:13], s[10:11], -v[106:107]
	v_fma_f64 v[106:107], v[216:217], s[20:21], -v[116:117]
	v_add_f64 v[108:109], v[148:149], v[108:109]
	v_fma_f64 v[114:115], s[26:27], v[2:3], v[110:111]
	v_fma_f64 v[94:95], v[2:3], s[26:27], -v[110:111]
	v_fma_f64 v[104:105], v[236:237], s[0:1], -v[186:187]
	v_add_f64 v[106:107], v[106:107], v[108:109]
	v_mul_f64 v[110:111], v[238:239], s[20:21]
	v_add_f64 v[104:105], v[104:105], v[106:107]
	v_mul_f64 v[106:107], v[244:245], s[26:27]
	v_fma_f64 v[112:113], s[30:31], v[222:223], v[110:111]
	v_add_f64 v[94:95], v[94:95], v[104:105]
	v_mul_f64 v[20:21], v[20:21], s[0:1]
	v_mul_f64 v[8:9], v[8:9], s[10:11]
	v_fma_f64 v[108:109], s[34:35], v[224:225], v[106:107]
	v_add_f64 v[112:113], v[150:151], v[112:113]
	v_fmac_f64_e32 v[110:111], s[24:25], v[222:223]
	v_add_f64 v[186:187], v[92:93], v[94:95]
	v_fma_f64 v[94:95], s[36:37], v[10:11], v[20:21]
	v_fma_f64 v[104:105], s[18:19], v[246:247], v[8:9]
	v_add_f64 v[108:109], v[108:109], v[112:113]
	v_fmac_f64_e32 v[20:21], s[12:13], v[10:11]
	v_fmac_f64_e32 v[106:107], s[28:29], v[224:225]
	v_add_f64 v[10:11], v[150:151], v[110:111]
	v_mul_f64 v[92:93], v[24:25], s[14:15]
	v_add_f64 v[104:105], v[104:105], v[108:109]
	v_fmac_f64_e32 v[8:9], s[38:39], v[246:247]
	v_add_f64 v[10:11], v[106:107], v[10:11]
	v_mul_f64 v[34:35], v[24:25], s[0:1]
	v_fma_f64 v[24:25], s[40:41], v[18:19], v[92:93]
	v_add_f64 v[94:95], v[94:95], v[104:105]
	v_mul_f64 v[16:17], v[16:17], s[12:13]
	v_mul_f64 v[116:117], v[230:231], s[24:25]
	v_add_f64 v[8:9], v[8:9], v[10:11]
	v_add_f64 v[24:25], v[24:25], v[94:95]
	v_mul_f64 v[94:95], v[22:23], s[22:23]
	v_fma_f64 v[104:105], s[0:1], v[2:3], v[16:17]
	v_mul_f64 v[112:113], v[234:235], s[28:29]
	v_fmac_f64_e32 v[92:93], s[22:23], v[18:19]
	v_add_f64 v[8:9], v[20:21], v[8:9]
	v_fma_f64 v[2:3], v[2:3], s[0:1], -v[16:17]
	v_fma_f64 v[16:17], v[214:215], s[20:21], -v[116:117]
	v_fma_f64 v[22:23], s[14:15], v[12:13], v[94:95]
	v_mul_f64 v[0:1], v[0:1], s[38:39]
	v_add_f64 v[10:11], v[92:93], v[8:9]
	v_fma_f64 v[8:9], v[12:13], s[14:15], -v[94:95]
	v_fma_f64 v[12:13], v[216:217], s[26:27], -v[112:113]
	v_add_f64 v[16:17], v[148:149], v[16:17]
	v_fma_f64 v[108:109], s[10:11], v[236:237], v[0:1]
	v_fma_f64 v[0:1], v[236:237], s[10:11], -v[0:1]
	v_add_f64 v[12:13], v[12:13], v[16:17]
	v_add_f64 v[0:1], v[0:1], v[12:13]
	;; [unrolled: 1-line block ×5, first 2 shown]
	v_accvgpr_read_b32 v2, a106
	v_accvgpr_read_b32 v14, a96
	;; [unrolled: 1-line block ×5, first 2 shown]
	v_add_f64 v[2:3], v[4:5], v[2:3]
	v_accvgpr_read_b32 v4, a104
	v_accvgpr_read_b32 v13, a101
	v_add_f64 v[14:15], v[212:213], v[14:15]
	v_accvgpr_read_b32 v5, a105
	v_add_f64 v[12:13], v[228:229], v[12:13]
	v_add_f64 v[14:15], v[150:151], v[14:15]
	;; [unrolled: 1-line block ×7, first 2 shown]
	v_accvgpr_read_b32 v0, a102
	v_accvgpr_read_b32 v14, a86
	;; [unrolled: 1-line block ×5, first 2 shown]
	v_add_f64 v[0:1], v[0:1], -v[6:7]
	v_accvgpr_read_b32 v6, a94
	v_accvgpr_read_b32 v13, a91
	v_add_f64 v[14:15], v[14:15], -v[210:211]
	v_accvgpr_read_b32 v4, a98
	v_accvgpr_read_b32 v7, a95
	v_add_f64 v[12:13], v[12:13], -v[220:221]
	v_add_f64 v[14:15], v[148:149], v[14:15]
	v_accvgpr_read_b32 v16, a76
	v_accvgpr_read_b32 v5, a99
	v_add_f64 v[6:7], v[6:7], -v[240:241]
	v_add_f64 v[12:13], v[12:13], v[14:15]
	v_accvgpr_read_b32 v14, a80
	v_accvgpr_read_b32 v17, a77
	v_add_f64 v[4:5], v[4:5], -v[252:253]
	v_add_f64 v[6:7], v[6:7], v[12:13]
	v_accvgpr_read_b32 v12, a84
	v_accvgpr_read_b32 v15, a81
	v_add_f64 v[16:17], v[180:181], v[16:17]
	v_add_f64 v[4:5], v[4:5], v[6:7]
	v_accvgpr_read_b32 v6, a88
	v_accvgpr_read_b32 v13, a85
	v_add_f64 v[14:15], v[182:183], v[14:15]
	v_add_f64 v[16:17], v[150:151], v[16:17]
	v_accvgpr_read_b32 v18, a70
	v_add_f64 v[0:1], v[0:1], v[4:5]
	v_accvgpr_read_b32 v4, a92
	v_accvgpr_read_b32 v7, a89
	v_add_f64 v[12:13], v[226:227], v[12:13]
	v_add_f64 v[14:15], v[14:15], v[16:17]
	v_accvgpr_read_b32 v16, a72
	v_accvgpr_read_b32 v19, a71
	;; [unrolled: 1-line block ×3, first 2 shown]
	v_add_f64 v[6:7], v[242:243], v[6:7]
	v_add_f64 v[12:13], v[12:13], v[14:15]
	v_accvgpr_read_b32 v14, a74
	v_accvgpr_read_b32 v17, a73
	v_add_f64 v[18:19], v[18:19], -v[176:177]
	v_add_f64 v[4:5], v[254:255], v[4:5]
	v_add_f64 v[6:7], v[6:7], v[12:13]
	v_accvgpr_read_b32 v12, a78
	v_accvgpr_read_b32 v15, a75
	v_add_f64 v[16:17], v[16:17], -v[178:179]
	;; [unrolled: 5-line block ×3, first 2 shown]
	v_add_f64 v[16:17], v[16:17], v[18:19]
	v_accvgpr_read_b32 v5, a83
	v_add_f64 v[12:13], v[12:13], -v[232:233]
	v_add_f64 v[14:15], v[14:15], v[16:17]
	v_add_f64 v[4:5], v[4:5], -v[248:249]
	v_add_f64 v[12:13], v[12:13], v[14:15]
	v_add_f64 v[4:5], v[4:5], v[12:13]
	;; [unrolled: 1-line block ×18, first 2 shown]
	v_fma_f64 v[118:119], s[20:21], v[214:215], v[116:117]
	v_add_f64 v[12:13], v[12:13], v[158:159]
	v_add_f64 v[30:31], v[30:31], v[114:115]
	v_fma_f64 v[114:115], s[26:27], v[216:217], v[112:113]
	v_add_f64 v[118:119], v[148:149], v[118:119]
	v_add_f64 v[12:13], v[12:13], v[172:173]
	;; [unrolled: 1-line block ×6, first 2 shown]
	v_accvgpr_read_b32 v123, a40
	v_add_f64 v[104:105], v[104:105], v[108:109]
	v_add_f64 v[12:13], v[12:13], v[174:175]
	;; [unrolled: 1-line block ×3, first 2 shown]
	ds_write_b128 v184, v[12:15]
	ds_write_b128 v184, v[4:7] offset:1584
	ds_write_b128 v184, v[0:3] offset:3168
	;; [unrolled: 1-line block ×10, first 2 shown]
.LBB0_9:
	s_or_b64 exec, exec, s[16:17]
	v_accvgpr_read_b32 v254, a0
	v_lshlrev_b32_e32 v0, 4, v254
	v_mov_b32_e32 v1, 0
	v_lshl_add_u64 v[156:157], s[8:9], 0, v[0:1]
	s_mov_b64 s[0:1], 0x4410
	v_lshl_add_u64 v[16:17], v[156:157], 0, s[0:1]
	s_movk_i32 s0, 0x4000
	v_add_co_u32_e64 v0, s[0:1], s0, v156
	s_waitcnt lgkmcnt(0)
	s_nop 0
	v_addc_co_u32_e64 v1, s[0:1], 0, v157, s[0:1]
	s_movk_i32 s0, 0x5000
	s_nop 0
	v_add_co_u32_e64 v2, s[0:1], s0, v156
	s_barrier
	s_nop 0
	v_addc_co_u32_e64 v3, s[0:1], 0, v157, s[0:1]
	s_movk_i32 s0, 0x7000
	s_nop 0
	v_add_co_u32_e64 v12, s[0:1], s0, v156
	s_nop 1
	v_addc_co_u32_e64 v13, s[0:1], 0, v157, s[0:1]
	s_movk_i32 s0, 0x6000
	s_nop 0
	v_add_co_u32_e64 v20, s[0:1], s0, v156
	global_load_dwordx4 v[148:151], v[0:1], off offset:1040
	global_load_dwordx4 v[152:155], v[2:3], off offset:2752
	s_nop 0
	global_load_dwordx4 v[0:3], v[12:13], off offset:368
	global_load_dwordx4 v[4:7], v[16:17], off offset:1936
	v_addc_co_u32_e64 v21, s[0:1], 0, v157, s[0:1]
	global_load_dwordx4 v[8:11], v[20:21], off offset:592
	s_nop 0
	global_load_dwordx4 v[12:15], v[12:13], off offset:2304
	s_nop 0
	;; [unrolled: 2-line block ×3, first 2 shown]
	global_load_dwordx4 v[20:23], v[20:21], off offset:2528
	s_mov_b32 s0, 0x8000
	v_add_co_u32_e64 v24, s[0:1], s0, v156
	s_mov_b32 s9, 0x3febb67a
	s_nop 0
	v_addc_co_u32_e64 v25, s[0:1], 0, v157, s[0:1]
	global_load_dwordx4 v[24:27], v[24:25], off offset:144
	ds_read_b128 v[28:31], v184
	ds_read_b128 v[156:159], v184 offset:1936
	ds_read_b128 v[160:163], v184 offset:11616
	;; [unrolled: 1-line block ×7, first 2 shown]
	s_mov_b32 s0, 0xe8584caa
	s_mov_b32 s1, 0xbfebb67a
	;; [unrolled: 1-line block ×3, first 2 shown]
	s_waitcnt vmcnt(8) lgkmcnt(7)
	v_mul_f64 v[34:35], v[30:31], v[150:151]
	v_mul_f64 v[188:189], v[28:29], v[150:151]
	s_waitcnt vmcnt(7) lgkmcnt(3)
	v_mul_f64 v[92:93], v[170:171], v[154:155]
	v_mul_f64 v[32:33], v[168:169], v[154:155]
	s_waitcnt vmcnt(6)
	v_mul_f64 v[94:95], v[162:163], v[2:3]
	v_mul_f64 v[150:151], v[160:161], v[2:3]
	s_waitcnt vmcnt(5)
	v_mul_f64 v[104:105], v[158:159], v[6:7]
	v_mul_f64 v[2:3], v[156:157], v[6:7]
	s_waitcnt vmcnt(4) lgkmcnt(1)
	v_mul_f64 v[106:107], v[178:179], v[10:11]
	v_mul_f64 v[6:7], v[176:177], v[10:11]
	s_waitcnt vmcnt(3)
	v_mul_f64 v[108:109], v[166:167], v[14:15]
	v_mul_f64 v[10:11], v[164:165], v[14:15]
	s_waitcnt vmcnt(2)
	v_mul_f64 v[110:111], v[174:175], v[18:19]
	v_mul_f64 v[14:15], v[172:173], v[18:19]
	v_fma_f64 v[186:187], v[28:29], v[148:149], -v[34:35]
	v_fmac_f64_e32 v[188:189], v[30:31], v[148:149]
	v_fma_f64 v[30:31], v[168:169], v[152:153], -v[92:93]
	v_fmac_f64_e32 v[32:33], v[170:171], v[152:153]
	;; [unrolled: 2-line block ×7, first 2 shown]
	ds_write_b128 v184, v[186:189]
	ds_write_b128 v184, v[30:33] offset:5808
	ds_write_b128 v184, v[148:151] offset:11616
	;; [unrolled: 1-line block ×6, first 2 shown]
	ds_read_b128 v[0:3], v184 offset:15488
	s_waitcnt vmcnt(1) lgkmcnt(8)
	v_mul_f64 v[4:5], v[182:183], v[22:23]
	v_mul_f64 v[6:7], v[180:181], v[22:23]
	v_fma_f64 v[4:5], v[180:181], v[20:21], -v[4:5]
	v_fmac_f64_e32 v[6:7], v[182:183], v[20:21]
	ds_write_b128 v184, v[4:7] offset:9680
	s_waitcnt vmcnt(0) lgkmcnt(1)
	v_mul_f64 v[4:5], v[2:3], v[26:27]
	v_mul_f64 v[6:7], v[0:1], v[26:27]
	v_fma_f64 v[4:5], v[0:1], v[24:25], -v[4:5]
	v_fmac_f64_e32 v[6:7], v[2:3], v[24:25]
	ds_write_b128 v184, v[4:7] offset:15488
	s_waitcnt lgkmcnt(0)
	s_barrier
	ds_read_b128 v[152:155], v184
	ds_read_b128 v[156:159], v184 offset:1936
	ds_read_b128 v[0:3], v184 offset:11616
	;; [unrolled: 1-line block ×8, first 2 shown]
	s_waitcnt lgkmcnt(4)
	v_add_f64 v[24:25], v[152:153], v[8:9]
	v_add_f64 v[148:149], v[24:25], v[0:1]
	;; [unrolled: 1-line block ×3, first 2 shown]
	v_fmac_f64_e32 v[152:153], -0.5, v[24:25]
	v_add_f64 v[24:25], v[10:11], -v[2:3]
	v_fma_f64 v[160:161], s[0:1], v[24:25], v[152:153]
	v_fmac_f64_e32 v[152:153], s[8:9], v[24:25]
	v_add_f64 v[24:25], v[154:155], v[10:11]
	v_add_f64 v[150:151], v[24:25], v[2:3]
	;; [unrolled: 1-line block ×3, first 2 shown]
	v_fmac_f64_e32 v[154:155], -0.5, v[2:3]
	v_add_f64 v[0:1], v[8:9], -v[0:1]
	v_fma_f64 v[162:163], s[8:9], v[0:1], v[154:155]
	v_fmac_f64_e32 v[154:155], s[0:1], v[0:1]
	s_waitcnt lgkmcnt(2)
	v_add_f64 v[0:1], v[156:157], v[12:13]
	v_add_f64 v[168:169], v[0:1], v[4:5]
	;; [unrolled: 1-line block ×3, first 2 shown]
	v_fmac_f64_e32 v[156:157], -0.5, v[0:1]
	v_add_f64 v[0:1], v[14:15], -v[6:7]
	v_fma_f64 v[172:173], s[0:1], v[0:1], v[156:157]
	v_fmac_f64_e32 v[156:157], s[8:9], v[0:1]
	v_add_f64 v[0:1], v[158:159], v[14:15]
	v_add_f64 v[170:171], v[0:1], v[6:7]
	;; [unrolled: 1-line block ×3, first 2 shown]
	v_fmac_f64_e32 v[158:159], -0.5, v[0:1]
	v_add_f64 v[0:1], v[12:13], -v[4:5]
	v_fma_f64 v[174:175], s[8:9], v[0:1], v[158:159]
	v_fmac_f64_e32 v[158:159], s[0:1], v[0:1]
	s_waitcnt lgkmcnt(1)
	v_add_f64 v[0:1], v[164:165], v[16:17]
	s_waitcnt lgkmcnt(0)
	v_add_f64 v[176:177], v[0:1], v[20:21]
	v_add_f64 v[0:1], v[16:17], v[20:21]
	v_fmac_f64_e32 v[164:165], -0.5, v[0:1]
	v_add_f64 v[0:1], v[18:19], -v[22:23]
	v_fma_f64 v[180:181], s[0:1], v[0:1], v[164:165]
	v_fmac_f64_e32 v[164:165], s[8:9], v[0:1]
	v_add_f64 v[0:1], v[166:167], v[18:19]
	v_add_f64 v[178:179], v[0:1], v[22:23]
	;; [unrolled: 1-line block ×3, first 2 shown]
	v_fmac_f64_e32 v[166:167], -0.5, v[0:1]
	v_add_f64 v[0:1], v[16:17], -v[20:21]
	v_fma_f64 v[182:183], s[8:9], v[0:1], v[166:167]
	v_fmac_f64_e32 v[166:167], s[0:1], v[0:1]
	v_accvgpr_read_b32 v0, a41
	s_barrier
	ds_write_b128 v123, v[148:151]
	ds_write_b128 v123, v[160:163] offset:16
	ds_write_b128 v123, v[152:155] offset:32
	ds_write_b128 v0, v[168:171]
	ds_write_b128 v0, v[172:175] offset:16
	ds_write_b128 v0, v[156:159] offset:32
	v_accvgpr_read_b32 v0, a42
	ds_write_b128 v0, v[176:179]
	ds_write_b128 v0, v[180:183] offset:16
	ds_write_b128 v0, v[164:167] offset:32
	s_waitcnt lgkmcnt(0)
	s_barrier
	s_and_saveexec_b64 s[0:1], vcc
	s_cbranch_execz .LBB0_11
; %bb.10:
	ds_read_b128 v[148:151], v184
	ds_read_b128 v[160:163], v184 offset:1584
	ds_read_b128 v[152:155], v184 offset:3168
	;; [unrolled: 1-line block ×10, first 2 shown]
.LBB0_11:
	s_or_b64 exec, exec, s[0:1]
	s_waitcnt lgkmcnt(9)
	v_mul_f64 v[190:191], v[50:51], v[162:163]
	v_mul_f64 v[0:1], v[50:51], v[160:161]
	v_fmac_f64_e32 v[190:191], v[48:49], v[160:161]
	v_fma_f64 v[160:161], v[48:49], v[162:163], -v[0:1]
	s_waitcnt lgkmcnt(8)
	v_mul_f64 v[0:1], v[46:47], v[152:153]
	v_fma_f64 v[162:163], v[44:45], v[154:155], -v[0:1]
	s_waitcnt lgkmcnt(7)
	v_mul_f64 v[50:51], v[42:43], v[170:171]
	v_mul_f64 v[0:1], v[42:43], v[168:169]
	v_fmac_f64_e32 v[50:51], v[40:41], v[168:169]
	v_fma_f64 v[168:169], v[40:41], v[170:171], -v[0:1]
	s_waitcnt lgkmcnt(6)
	v_mul_f64 v[0:1], v[38:39], v[172:173]
	v_mul_f64 v[48:49], v[46:47], v[154:155]
	v_fma_f64 v[170:171], v[36:37], v[174:175], -v[0:1]
	s_waitcnt lgkmcnt(5)
	v_mul_f64 v[154:155], v[66:67], v[158:159]
	v_mul_f64 v[0:1], v[66:67], v[156:157]
	v_fmac_f64_e32 v[154:155], v[64:65], v[156:157]
	v_fma_f64 v[66:67], v[64:65], v[158:159], -v[0:1]
	s_waitcnt lgkmcnt(4)
	v_mul_f64 v[64:65], v[62:63], v[178:179]
	v_mul_f64 v[0:1], v[62:63], v[176:177]
	v_fmac_f64_e32 v[64:65], v[60:61], v[176:177]
	;; [unrolled: 5-line block ×6, first 2 shown]
	v_fma_f64 v[68:69], v[68:69], v[142:143], -v[0:1]
	v_fmac_f64_e32 v[48:49], v[44:45], v[152:153]
	v_mul_f64 v[152:153], v[38:39], v[174:175]
	v_add_f64 v[174:175], v[160:161], -v[68:69]
	s_mov_b32 s8, 0x8764f0ba
	v_add_f64 v[142:143], v[190:191], v[54:55]
	v_add_f64 v[158:159], v[160:161], v[68:69]
	s_mov_b32 s9, 0x3feaeb8c
	v_mul_f64 v[70:71], v[174:175], s[12:13]
	s_mov_b32 s17, 0xbfed1bb4
	s_mov_b32 s16, 0x8eee2c13
	v_add_f64 v[202:203], v[162:163], -v[72:73]
	v_add_f64 v[182:183], v[190:191], -v[54:55]
	v_mul_f64 v[74:75], v[158:159], s[8:9]
	v_fma_f64 v[0:1], v[142:143], s[8:9], -v[70:71]
	v_add_f64 v[176:177], v[48:49], v[52:53]
	v_add_f64 v[192:193], v[162:163], v[72:73]
	v_mul_f64 v[140:141], v[202:203], s[16:17]
	v_add_f64 v[0:1], v[148:149], v[0:1]
	v_fma_f64 v[2:3], s[12:13], v[182:183], v[74:75]
	v_mul_f64 v[144:145], v[174:175], s[16:17]
	v_add_f64 v[210:211], v[48:49], -v[52:53]
	v_mul_f64 v[146:147], v[192:193], s[10:11]
	v_fma_f64 v[8:9], v[176:177], s[10:11], -v[140:141]
	v_fmac_f64_e32 v[152:153], v[36:37], v[172:173]
	v_add_f64 v[2:3], v[150:151], v[2:3]
	v_mul_f64 v[164:165], v[158:159], s[10:11]
	v_fma_f64 v[4:5], v[142:143], s[10:11], -v[144:145]
	v_add_f64 v[10:11], v[8:9], v[0:1]
	v_fma_f64 v[0:1], s[16:17], v[210:211], v[146:147]
	v_mul_f64 v[172:173], v[202:203], s[22:23]
	v_add_f64 v[4:5], v[148:149], v[4:5]
	v_fma_f64 v[6:7], s[16:17], v[182:183], v[164:165]
	v_add_f64 v[2:3], v[0:1], v[2:3]
	v_mul_f64 v[180:181], v[192:193], s[14:15]
	v_fma_f64 v[0:1], v[176:177], s[14:15], -v[172:173]
	v_add_f64 v[6:7], v[150:151], v[6:7]
	v_add_f64 v[4:5], v[0:1], v[4:5]
	v_fma_f64 v[0:1], s[22:23], v[210:211], v[180:181]
	v_add_f64 v[6:7], v[0:1], v[6:7]
	v_add_f64 v[0:1], v[168:169], -v[156:157]
	s_mov_b32 s18, 0x640f44db
	v_add_f64 v[196:197], v[50:51], v[56:57]
	v_add_f64 v[206:207], v[168:169], v[156:157]
	s_mov_b32 s19, 0xbfc2375f
	v_mul_f64 v[166:167], v[0:1], s[24:25]
	s_mov_b32 s26, 0xfd768dbf
	v_add_f64 v[8:9], v[50:51], -v[56:57]
	v_mul_f64 v[178:179], v[206:207], s[18:19]
	v_fma_f64 v[12:13], v[196:197], s[18:19], -v[166:167]
	s_mov_b32 s20, 0x9bcd5057
	s_mov_b32 s27, 0x3fd207e7
	v_add_f64 v[12:13], v[12:13], v[10:11]
	v_fma_f64 v[10:11], s[24:25], v[8:9], v[178:179]
	s_mov_b32 s21, 0xbfeeb42a
	v_mul_f64 v[198:199], v[0:1], s[26:27]
	v_add_f64 v[2:3], v[10:11], v[2:3]
	v_mul_f64 v[208:209], v[206:207], s[20:21]
	v_fma_f64 v[10:11], v[196:197], s[20:21], -v[198:199]
	v_add_f64 v[14:15], v[10:11], v[4:5]
	v_fma_f64 v[4:5], s[26:27], v[8:9], v[208:209]
	v_add_f64 v[16:17], v[170:171], -v[58:59]
	v_add_f64 v[6:7], v[4:5], v[6:7]
	v_add_f64 v[4:5], v[152:153], v[60:61]
	v_add_f64 v[10:11], v[170:171], v[58:59]
	v_mul_f64 v[194:195], v[16:17], s[22:23]
	v_add_f64 v[20:21], v[152:153], -v[60:61]
	v_mul_f64 v[200:201], v[10:11], s[14:15]
	v_fma_f64 v[18:19], v[4:5], s[14:15], -v[194:195]
	s_mov_b32 s29, 0x3fefac9e
	s_mov_b32 s28, s24
	v_add_f64 v[26:27], v[18:19], v[12:13]
	v_fma_f64 v[12:13], s[22:23], v[20:21], v[200:201]
	v_mul_f64 v[212:213], v[16:17], s[28:29]
	v_add_f64 v[28:29], v[12:13], v[2:3]
	v_mul_f64 v[2:3], v[10:11], s[18:19]
	v_fma_f64 v[12:13], v[4:5], s[18:19], -v[212:213]
	v_add_f64 v[30:31], v[12:13], v[14:15]
	v_fma_f64 v[12:13], s[28:29], v[20:21], v[2:3]
	v_add_f64 v[22:23], v[66:67], -v[62:63]
	s_mov_b32 s31, 0xbfd207e7
	s_mov_b32 s30, s26
	v_add_f64 v[32:33], v[12:13], v[6:7]
	v_add_f64 v[12:13], v[154:155], v[64:65]
	;; [unrolled: 1-line block ×3, first 2 shown]
	v_mul_f64 v[204:205], v[22:23], s[30:31]
	v_add_f64 v[24:25], v[154:155], -v[64:65]
	v_mul_f64 v[214:215], v[18:19], s[20:21]
	v_fma_f64 v[6:7], v[12:13], s[20:21], -v[204:205]
	v_add_f64 v[36:37], v[6:7], v[26:27]
	v_fma_f64 v[6:7], s[30:31], v[24:25], v[214:215]
	s_mov_b32 s35, 0x3fe14ced
	s_mov_b32 s34, s12
	v_add_f64 v[38:39], v[6:7], v[28:29]
	v_mul_f64 v[6:7], v[22:23], s[34:35]
	v_mul_f64 v[14:15], v[18:19], s[8:9]
	v_fma_f64 v[26:27], v[12:13], s[8:9], -v[6:7]
	v_add_f64 v[40:41], v[26:27], v[30:31]
	v_fma_f64 v[26:27], s[34:35], v[24:25], v[14:15]
	v_add_f64 v[42:43], v[26:27], v[32:33]
	s_barrier
	s_and_saveexec_b64 s[0:1], vcc
	s_cbranch_execz .LBB0_13
; %bb.12:
	v_mul_f64 v[230:231], v[182:183], s[30:31]
	v_mul_f64 v[188:189], v[210:211], s[34:35]
	v_fma_f64 v[232:233], s[20:21], v[158:159], v[230:231]
	v_mul_f64 v[104:105], v[182:183], s[16:17]
	v_mul_f64 v[108:109], v[210:211], s[16:17]
	s_mov_b32 s17, 0x3fed1bb4
	v_mul_f64 v[186:187], v[8:9], s[22:23]
	v_fma_f64 v[46:47], s[8:9], v[192:193], v[188:189]
	v_add_f64 v[232:233], v[150:151], v[232:233]
	v_mul_f64 v[242:243], v[174:175], s[30:31]
	v_mul_f64 v[30:31], v[20:21], s[16:17]
	v_fma_f64 v[44:45], s[14:15], v[206:207], v[186:187]
	v_add_f64 v[46:47], v[46:47], v[232:233]
	v_mul_f64 v[238:239], v[202:203], s[34:35]
	v_fma_f64 v[244:245], v[142:143], s[20:21], -v[242:243]
	v_mul_f64 v[26:27], v[24:25], s[24:25]
	v_fma_f64 v[32:33], s[10:11], v[10:11], v[30:31]
	v_add_f64 v[44:45], v[44:45], v[46:47]
	v_mul_f64 v[234:235], v[0:1], s[22:23]
	v_fma_f64 v[240:241], v[176:177], s[8:9], -v[238:239]
	v_add_f64 v[244:245], v[148:149], v[244:245]
	v_fma_f64 v[28:29], s[18:19], v[18:19], v[26:27]
	v_add_f64 v[32:33], v[32:33], v[44:45]
	v_mul_f64 v[232:233], v[16:17], s[16:17]
	v_fma_f64 v[236:237], v[196:197], s[14:15], -v[234:235]
	v_add_f64 v[240:241], v[240:241], v[244:245]
	v_add_f64 v[46:47], v[28:29], v[32:33]
	v_mul_f64 v[32:33], v[22:23], s[24:25]
	v_fma_f64 v[44:45], v[4:5], s[10:11], -v[232:233]
	v_add_f64 v[236:237], v[236:237], v[240:241]
	v_fma_f64 v[28:29], v[12:13], s[18:19], -v[32:33]
	v_add_f64 v[44:45], v[44:45], v[236:237]
	v_add_f64 v[44:45], v[28:29], v[44:45]
	v_fma_f64 v[28:29], v[10:11], s[10:11], -v[30:31]
	v_fma_f64 v[30:31], v[206:207], s[14:15], -v[186:187]
	;; [unrolled: 1-line block ×4, first 2 shown]
	v_add_f64 v[188:189], v[150:151], v[188:189]
	v_add_f64 v[186:187], v[186:187], v[188:189]
	;; [unrolled: 1-line block ×3, first 2 shown]
	v_fma_f64 v[26:27], v[18:19], s[18:19], -v[26:27]
	v_add_f64 v[28:29], v[28:29], v[30:31]
	v_fmac_f64_e32 v[242:243], s[20:21], v[142:143]
	v_add_f64 v[28:29], v[26:27], v[28:29]
	v_fmac_f64_e32 v[238:239], s[8:9], v[176:177]
	;; [unrolled: 2-line block ×3, first 2 shown]
	v_add_f64 v[26:27], v[238:239], v[26:27]
	v_mul_f64 v[238:239], v[182:183], s[22:23]
	v_add_f64 v[26:27], v[234:235], v[26:27]
	v_mul_f64 v[234:235], v[210:211], s[28:29]
	v_fma_f64 v[240:241], s[14:15], v[158:159], v[238:239]
	v_fma_f64 v[238:239], v[158:159], s[14:15], -v[238:239]
	v_fmac_f64_e32 v[232:233], s[10:11], v[4:5]
	v_mul_f64 v[230:231], v[8:9], s[12:13]
	v_fma_f64 v[236:237], s[18:19], v[192:193], v[234:235]
	v_fma_f64 v[234:235], v[192:193], s[18:19], -v[234:235]
	v_add_f64 v[238:239], v[150:151], v[238:239]
	v_fmac_f64_e32 v[32:33], s[18:19], v[12:13]
	v_add_f64 v[26:27], v[232:233], v[26:27]
	v_mul_f64 v[188:189], v[20:21], s[30:31]
	v_fma_f64 v[232:233], s[8:9], v[206:207], v[230:231]
	v_fma_f64 v[230:231], v[206:207], s[8:9], -v[230:231]
	v_add_f64 v[234:235], v[234:235], v[238:239]
	v_add_f64 v[26:27], v[32:33], v[26:27]
	v_mul_f64 v[186:187], v[24:25], s[16:17]
	v_fma_f64 v[32:33], s[20:21], v[10:11], v[188:189]
	v_mul_f64 v[250:251], v[174:175], s[22:23]
	v_fma_f64 v[188:189], v[10:11], s[20:21], -v[188:189]
	v_add_f64 v[230:231], v[230:231], v[234:235]
	v_fma_f64 v[30:31], s[10:11], v[18:19], v[186:187]
	v_add_f64 v[240:241], v[150:151], v[240:241]
	v_mul_f64 v[246:247], v[202:203], s[28:29]
	v_fma_f64 v[252:253], v[142:143], s[14:15], -v[250:251]
	v_fma_f64 v[186:187], v[18:19], s[10:11], -v[186:187]
	v_add_f64 v[188:189], v[188:189], v[230:231]
	v_fmac_f64_e32 v[250:251], s[14:15], v[142:143]
	v_add_f64 v[236:237], v[236:237], v[240:241]
	v_mul_f64 v[242:243], v[0:1], s[12:13]
	v_fma_f64 v[248:249], v[176:177], s[18:19], -v[246:247]
	v_add_f64 v[188:189], v[186:187], v[188:189]
	v_fmac_f64_e32 v[246:247], s[18:19], v[176:177]
	v_add_f64 v[186:187], v[148:149], v[250:251]
	v_mul_f64 v[92:93], v[182:183], s[12:13]
	v_add_f64 v[232:233], v[232:233], v[236:237]
	v_mul_f64 v[236:237], v[16:17], s[30:31]
	v_fma_f64 v[244:245], v[196:197], s[8:9], -v[242:243]
	v_add_f64 v[252:253], v[148:149], v[252:253]
	v_fmac_f64_e32 v[242:243], s[8:9], v[196:197]
	v_add_f64 v[186:187], v[246:247], v[186:187]
	v_mul_f64 v[182:183], v[182:183], s[24:25]
	v_mul_f64 v[112:113], v[210:211], s[22:23]
	v_fma_f64 v[240:241], v[4:5], s[20:21], -v[236:237]
	v_add_f64 v[248:249], v[248:249], v[252:253]
	v_fmac_f64_e32 v[236:237], s[20:21], v[4:5]
	v_add_f64 v[186:187], v[242:243], v[186:187]
	v_mul_f64 v[210:211], v[210:211], s[26:27]
	v_fma_f64 v[238:239], s[18:19], v[158:159], v[182:183]
	v_mul_f64 v[116:117], v[8:9], s[24:25]
	v_mul_f64 v[120:121], v[8:9], s[26:27]
	v_add_f64 v[32:33], v[32:33], v[232:233]
	v_mul_f64 v[232:233], v[22:23], s[16:17]
	v_add_f64 v[244:245], v[244:245], v[248:249]
	v_add_f64 v[186:187], v[236:237], v[186:187]
	v_mul_f64 v[8:9], v[8:9], s[16:17]
	v_fma_f64 v[236:237], s[20:21], v[192:193], v[210:211]
	v_add_f64 v[238:239], v[150:151], v[238:239]
	v_mul_f64 v[216:217], v[20:21], s[22:23]
	v_mul_f64 v[220:221], v[20:21], s[28:29]
	v_add_f64 v[32:33], v[30:31], v[32:33]
	v_fma_f64 v[30:31], v[12:13], s[10:11], -v[232:233]
	v_add_f64 v[240:241], v[240:241], v[244:245]
	v_fmac_f64_e32 v[232:233], s[10:11], v[12:13]
	v_mul_f64 v[20:21], v[20:21], s[12:13]
	v_fma_f64 v[234:235], s[10:11], v[206:207], v[8:9]
	v_add_f64 v[236:237], v[236:237], v[238:239]
	v_mul_f64 v[174:175], v[174:175], s[24:25]
	v_add_f64 v[30:31], v[30:31], v[240:241]
	v_add_f64 v[186:187], v[232:233], v[186:187]
	v_fma_f64 v[232:233], s[8:9], v[10:11], v[20:21]
	v_add_f64 v[234:235], v[234:235], v[236:237]
	v_mul_f64 v[16:17], v[16:17], s[12:13]
	v_mul_f64 v[202:203], v[202:203], s[26:27]
	v_fma_f64 v[240:241], v[142:143], s[18:19], -v[174:175]
	v_fma_f64 v[158:159], v[158:159], s[18:19], -v[182:183]
	v_fmac_f64_e32 v[174:175], s[18:19], v[142:143]
	v_mul_f64 v[122:123], v[4:5], s[14:15]
	v_mul_f64 v[218:219], v[4:5], s[18:19]
	;; [unrolled: 1-line block ×3, first 2 shown]
	v_add_f64 v[232:233], v[232:233], v[234:235]
	v_fma_f64 v[234:235], v[4:5], s[8:9], -v[16:17]
	v_mul_f64 v[0:1], v[0:1], s[16:17]
	v_fma_f64 v[238:239], v[176:177], s[20:21], -v[202:203]
	v_fma_f64 v[10:11], v[10:11], s[8:9], -v[20:21]
	;; [unrolled: 1-line block ×3, first 2 shown]
	v_add_f64 v[158:159], v[150:151], v[158:159]
	v_fmac_f64_e32 v[16:17], s[8:9], v[4:5]
	v_fmac_f64_e32 v[202:203], s[20:21], v[176:177]
	v_add_f64 v[4:5], v[148:149], v[174:175]
	v_mul_f64 v[224:225], v[24:25], s[30:31]
	v_mul_f64 v[228:229], v[24:25], s[34:35]
	v_fma_f64 v[24:25], s[14:15], v[18:19], v[230:231]
	v_fma_f64 v[236:237], v[196:197], s[10:11], -v[0:1]
	v_fma_f64 v[8:9], v[206:207], s[10:11], -v[8:9]
	v_add_f64 v[20:21], v[20:21], v[158:159]
	v_fmac_f64_e32 v[0:1], s[10:11], v[196:197]
	v_add_f64 v[4:5], v[202:203], v[4:5]
	v_add_f64 v[24:25], v[24:25], v[232:233]
	v_mul_f64 v[232:233], v[22:23], s[22:23]
	v_add_f64 v[8:9], v[8:9], v[20:21]
	v_add_f64 v[0:1], v[0:1], v[4:5]
	v_fma_f64 v[22:23], v[12:13], s[14:15], -v[232:233]
	v_fma_f64 v[18:19], v[18:19], s[14:15], -v[230:231]
	v_add_f64 v[8:9], v[10:11], v[8:9]
	v_fmac_f64_e32 v[232:233], s[14:15], v[12:13]
	v_add_f64 v[0:1], v[16:17], v[0:1]
	v_add_f64 v[10:11], v[18:19], v[8:9]
	;; [unrolled: 1-line block ×3, first 2 shown]
	v_add_f64 v[0:1], v[14:15], -v[228:229]
	v_add_f64 v[14:15], v[164:165], -v[104:105]
	v_mul_f64 v[222:223], v[12:13], s[20:21]
	v_mul_f64 v[226:227], v[12:13], s[8:9]
	v_add_f64 v[12:13], v[180:181], -v[112:113]
	v_add_f64 v[14:15], v[150:151], v[14:15]
	v_mul_f64 v[94:95], v[142:143], s[10:11]
	v_add_f64 v[4:5], v[208:209], -v[120:121]
	v_add_f64 v[12:13], v[12:13], v[14:15]
	;; [unrolled: 3-line block ×3, first 2 shown]
	v_add_f64 v[14:15], v[94:95], v[144:145]
	v_mul_f64 v[34:35], v[142:143], s[8:9]
	v_mul_f64 v[118:119], v[196:197], s[20:21]
	v_add_f64 v[2:3], v[2:3], v[4:5]
	v_add_f64 v[12:13], v[110:111], v[172:173]
	;; [unrolled: 1-line block ×3, first 2 shown]
	v_add_f64 v[16:17], v[74:75], -v[92:93]
	v_mul_f64 v[106:107], v[176:177], s[10:11]
	v_add_f64 v[2:3], v[0:1], v[2:3]
	v_add_f64 v[0:1], v[226:227], v[6:7]
	;; [unrolled: 1-line block ×4, first 2 shown]
	v_add_f64 v[14:15], v[146:147], -v[108:109]
	v_add_f64 v[16:17], v[150:151], v[16:17]
	v_add_f64 v[18:19], v[34:35], v[70:71]
	v_mul_f64 v[114:115], v[196:197], s[18:19]
	v_add_f64 v[4:5], v[218:219], v[212:213]
	v_add_f64 v[6:7], v[6:7], v[12:13]
	v_add_f64 v[12:13], v[178:179], -v[116:117]
	v_add_f64 v[14:15], v[14:15], v[16:17]
	v_add_f64 v[16:17], v[106:107], v[140:141]
	v_add_f64 v[18:19], v[148:149], v[18:19]
	v_add_f64 v[4:5], v[4:5], v[6:7]
	v_add_f64 v[6:7], v[200:201], -v[216:217]
	v_add_f64 v[12:13], v[12:13], v[14:15]
	v_add_f64 v[14:15], v[114:115], v[166:167]
	;; [unrolled: 5-line block ×3, first 2 shown]
	v_add_f64 v[14:15], v[14:15], v[16:17]
	v_add_f64 v[6:7], v[4:5], v[6:7]
	v_add_f64 v[4:5], v[222:223], v[204:205]
	v_add_f64 v[12:13], v[12:13], v[14:15]
	v_add_f64 v[4:5], v[4:5], v[12:13]
	v_add_f64 v[12:13], v[150:151], v[160:161]
	v_add_f64 v[12:13], v[12:13], v[162:163]
	v_add_f64 v[12:13], v[12:13], v[168:169]
	v_add_f64 v[12:13], v[12:13], v[170:171]
	v_add_f64 v[12:13], v[12:13], v[66:67]
	v_add_f64 v[12:13], v[12:13], v[62:63]
	v_add_f64 v[12:13], v[12:13], v[58:59]
	v_add_f64 v[12:13], v[12:13], v[156:157]
	v_add_f64 v[12:13], v[12:13], v[72:73]
	v_add_f64 v[14:15], v[12:13], v[68:69]
	v_add_f64 v[12:13], v[148:149], v[190:191]
	v_add_f64 v[12:13], v[12:13], v[48:49]
	v_add_f64 v[12:13], v[12:13], v[50:51]
	v_add_f64 v[12:13], v[12:13], v[152:153]
	v_add_f64 v[12:13], v[12:13], v[154:155]
	v_add_f64 v[12:13], v[12:13], v[64:65]
	v_add_f64 v[240:241], v[148:149], v[240:241]
	v_add_f64 v[12:13], v[12:13], v[60:61]
	v_add_f64 v[238:239], v[238:239], v[240:241]
	v_add_f64 v[12:13], v[12:13], v[56:57]
	v_add_f64 v[236:237], v[236:237], v[238:239]
	v_add_f64 v[12:13], v[12:13], v[52:53]
	v_accvgpr_read_b32 v16, a1
	v_accvgpr_read_b32 v17, a27
	v_add_f64 v[234:235], v[234:235], v[236:237]
	v_add_f64 v[12:13], v[12:13], v[54:55]
	v_add_lshl_u32 v16, v17, v16, 4
	v_add_f64 v[22:23], v[22:23], v[234:235]
	ds_write_b128 v16, v[12:15]
	ds_write_b128 v16, v[4:7] offset:48
	ds_write_b128 v16, v[0:3] offset:96
	;; [unrolled: 1-line block ×10, first 2 shown]
.LBB0_13:
	s_or_b64 exec, exec, s[0:1]
	s_waitcnt lgkmcnt(0)
	s_barrier
	ds_read_b128 v[48:51], v184
	ds_read_b128 v[56:59], v184 offset:1936
	ds_read_b128 v[0:3], v184 offset:11616
	;; [unrolled: 1-line block ×8, first 2 shown]
	s_waitcnt lgkmcnt(4)
	v_mul_f64 v[24:25], v[82:83], v[10:11]
	v_fmac_f64_e32 v[24:25], v[80:81], v[8:9]
	v_mul_f64 v[8:9], v[82:83], v[8:9]
	v_fma_f64 v[8:9], v[80:81], v[10:11], -v[8:9]
	v_mul_f64 v[10:11], v[78:79], v[2:3]
	v_fmac_f64_e32 v[10:11], v[76:77], v[0:1]
	v_mul_f64 v[0:1], v[78:79], v[0:1]
	v_fma_f64 v[0:1], v[76:77], v[2:3], -v[0:1]
	s_waitcnt lgkmcnt(2)
	v_mul_f64 v[2:3], v[90:91], v[14:15]
	v_fmac_f64_e32 v[2:3], v[88:89], v[12:13]
	v_mul_f64 v[12:13], v[90:91], v[12:13]
	v_fma_f64 v[12:13], v[88:89], v[14:15], -v[12:13]
	v_mul_f64 v[14:15], v[86:87], v[6:7]
	v_fmac_f64_e32 v[14:15], v[84:85], v[4:5]
	v_mul_f64 v[4:5], v[86:87], v[4:5]
	v_fma_f64 v[4:5], v[84:85], v[6:7], -v[4:5]
	s_waitcnt lgkmcnt(1)
	v_mul_f64 v[6:7], v[102:103], v[18:19]
	v_fmac_f64_e32 v[6:7], v[100:101], v[16:17]
	v_mul_f64 v[16:17], v[102:103], v[16:17]
	v_fma_f64 v[16:17], v[100:101], v[18:19], -v[16:17]
	s_waitcnt lgkmcnt(0)
	v_mul_f64 v[18:19], v[98:99], v[22:23]
	v_fmac_f64_e32 v[18:19], v[96:97], v[20:21]
	v_mul_f64 v[20:21], v[98:99], v[20:21]
	v_fma_f64 v[20:21], v[96:97], v[22:23], -v[20:21]
	v_add_f64 v[22:23], v[48:49], v[24:25]
	v_add_f64 v[44:45], v[22:23], v[10:11]
	;; [unrolled: 1-line block ×3, first 2 shown]
	s_mov_b32 s0, 0xe8584caa
	v_fmac_f64_e32 v[48:49], -0.5, v[22:23]
	v_add_f64 v[22:23], v[8:9], -v[0:1]
	s_mov_b32 s1, 0xbfebb67a
	s_mov_b32 s9, 0x3febb67a
	;; [unrolled: 1-line block ×3, first 2 shown]
	v_fma_f64 v[52:53], s[0:1], v[22:23], v[48:49]
	v_fmac_f64_e32 v[48:49], s[8:9], v[22:23]
	v_add_f64 v[22:23], v[50:51], v[8:9]
	v_add_f64 v[46:47], v[22:23], v[0:1]
	v_add_f64 v[0:1], v[8:9], v[0:1]
	v_fmac_f64_e32 v[50:51], -0.5, v[0:1]
	v_add_f64 v[0:1], v[24:25], -v[10:11]
	v_fma_f64 v[54:55], s[8:9], v[0:1], v[50:51]
	v_fmac_f64_e32 v[50:51], s[0:1], v[0:1]
	v_add_f64 v[0:1], v[56:57], v[2:3]
	v_add_f64 v[64:65], v[0:1], v[14:15]
	v_add_f64 v[0:1], v[2:3], v[14:15]
	v_fmac_f64_e32 v[56:57], -0.5, v[0:1]
	v_add_f64 v[0:1], v[12:13], -v[4:5]
	;; [unrolled: 7-line block ×5, first 2 shown]
	v_fma_f64 v[74:75], s[8:9], v[0:1], v[62:63]
	v_fmac_f64_e32 v[62:63], s[0:1], v[0:1]
	v_accvgpr_read_b32 v0, a43
	s_barrier
	ds_write_b128 v0, v[44:47]
	ds_write_b128 v0, v[52:55] offset:528
	ds_write_b128 v0, v[48:51] offset:1056
	v_accvgpr_read_b32 v0, a60
	ds_write_b128 v0, v[64:67]
	ds_write_b128 v0, v[68:71] offset:528
	ds_write_b128 v0, v[56:59] offset:1056
	ds_write_b128 v185, v[76:79]
	ds_write_b128 v185, v[72:75] offset:528
	ds_write_b128 v185, v[60:63] offset:1056
	s_waitcnt lgkmcnt(0)
	s_barrier
	s_and_saveexec_b64 s[0:1], vcc
	s_cbranch_execz .LBB0_15
; %bb.14:
	ds_read_b128 v[44:47], v184
	ds_read_b128 v[52:55], v184 offset:1584
	ds_read_b128 v[48:51], v184 offset:3168
	;; [unrolled: 1-line block ×10, first 2 shown]
.LBB0_15:
	s_or_b64 exec, exec, s[0:1]
	s_and_saveexec_b64 s[0:1], vcc
	s_cbranch_execz .LBB0_17
; %bb.16:
	v_accvgpr_read_b32 v8, a56
	v_accvgpr_read_b32 v12, a52
	s_waitcnt lgkmcnt(5)
	v_mul_f64 v[80:81], v[138:139], v[58:59]
	v_mul_f64 v[2:3], v[138:139], v[56:57]
	v_accvgpr_read_b32 v10, a58
	v_accvgpr_read_b32 v11, a59
	;; [unrolled: 1-line block ×5, first 2 shown]
	v_fmac_f64_e32 v[80:81], v[136:137], v[56:57]
	s_waitcnt lgkmcnt(4)
	v_mul_f64 v[82:83], v[134:135], v[78:79]
	v_fma_f64 v[84:85], v[136:137], v[58:59], -v[2:3]
	v_mul_f64 v[2:3], v[134:135], v[76:77]
	v_accvgpr_read_b32 v9, a57
	v_mul_f64 v[56:57], v[10:11], v[70:71]
	s_waitcnt lgkmcnt(3)
	v_mul_f64 v[58:59], v[130:131], v[74:75]
	v_mul_f64 v[6:7], v[10:11], v[68:69]
	v_accvgpr_read_b32 v13, a53
	v_accvgpr_read_b32 v18, a68
	;; [unrolled: 1-line block ×3, first 2 shown]
	v_mul_f64 v[10:11], v[14:15], v[64:65]
	v_fmac_f64_e32 v[82:83], v[132:133], v[76:77]
	v_fma_f64 v[76:77], v[132:133], v[78:79], -v[2:3]
	v_fmac_f64_e32 v[56:57], v[8:9], v[68:69]
	v_fmac_f64_e32 v[58:59], v[128:129], v[72:73]
	v_fma_f64 v[78:79], v[8:9], v[70:71], -v[6:7]
	v_mul_f64 v[6:7], v[130:131], v[72:73]
	v_mul_f64 v[72:73], v[14:15], v[66:67]
	v_accvgpr_read_b32 v17, a67
	s_waitcnt lgkmcnt(2)
	v_mul_f64 v[68:69], v[18:19], v[62:63]
	v_fma_f64 v[66:67], v[12:13], v[66:67], -v[10:11]
	v_mul_f64 v[10:11], v[18:19], v[60:61]
	v_fmac_f64_e32 v[68:69], v[16:17], v[60:61]
	v_fma_f64 v[62:63], v[16:17], v[62:63], -v[10:11]
	v_accvgpr_read_b32 v16, a48
	v_accvgpr_read_b32 v20, a44
	;; [unrolled: 1-line block ×9, first 2 shown]
	v_fmac_f64_e32 v[72:73], v[12:13], v[64:65]
	v_accvgpr_read_b32 v17, a49
	v_mul_f64 v[64:65], v[18:19], v[50:51]
	v_mul_f64 v[14:15], v[18:19], v[48:49]
	v_accvgpr_read_b32 v21, a45
	v_mul_f64 v[98:99], v[22:23], v[54:55]
	v_accvgpr_read_b32 v25, a63
	s_waitcnt lgkmcnt(0)
	v_mul_f64 v[90:91], v[26:27], v[38:39]
	v_mul_f64 v[18:19], v[22:23], v[52:53]
	;; [unrolled: 1-line block ×3, first 2 shown]
	v_fma_f64 v[100:101], v[16:17], v[50:51], -v[14:15]
	v_mul_f64 v[14:15], v[126:127], v[40:41]
	v_fmac_f64_e32 v[98:99], v[20:21], v[52:53]
	v_fmac_f64_e32 v[90:91], v[24:25], v[36:37]
	s_mov_b32 s24, 0xfd768dbf
	v_fma_f64 v[94:95], v[20:21], v[54:55], -v[18:19]
	v_mul_f64 v[18:19], v[26:27], v[36:37]
	v_fmac_f64_e32 v[64:65], v[16:17], v[48:49]
	v_fmac_f64_e32 v[60:61], v[124:125], v[40:41]
	s_mov_b32 s26, 0xf8bb580b
	v_fma_f64 v[96:97], v[124:125], v[42:43], -v[14:15]
	v_add_f64 v[124:125], v[98:99], -v[90:91]
	s_mov_b32 s25, 0xbfd207e7
	v_fma_f64 v[92:93], v[24:25], v[38:39], -v[18:19]
	s_mov_b32 s22, 0x9bcd5057
	s_mov_b32 s20, 0xbb3a28a1
	v_add_f64 v[110:111], v[64:65], -v[60:61]
	s_mov_b32 s27, 0x3fe14ced
	s_mov_b32 s18, 0x8764f0ba
	v_mul_f64 v[16:17], v[124:125], s[24:25]
	v_add_f64 v[106:107], v[94:95], v[92:93]
	s_mov_b32 s23, 0xbfeeb42a
	v_add_f64 v[112:113], v[72:73], -v[68:69]
	s_mov_b32 s21, 0xbfe82f19
	s_mov_b32 s16, 0x7f775887
	v_mul_f64 v[12:13], v[110:111], s[26:27]
	v_add_f64 v[104:105], v[100:101], v[96:97]
	s_mov_b32 s19, 0x3feaeb8c
	v_fma_f64 v[18:19], s[22:23], v[106:107], v[16:17]
	v_add_f64 v[134:135], v[94:95], -v[92:93]
	s_mov_b32 s10, 0x43842ef
	v_add_f64 v[102:103], v[56:57], -v[58:59]
	s_mov_b32 s15, 0x3fed1bb4
	s_mov_b32 s14, 0x8eee2c13
	v_fma_f64 v[70:71], v[128:129], v[74:75], -v[6:7]
	s_mov_b32 s12, 0xd9c712b6
	v_mul_f64 v[8:9], v[112:113], s[20:21]
	v_add_f64 v[108:109], v[66:67], v[62:63]
	s_mov_b32 s17, 0xbfe4f49e
	v_fma_f64 v[14:15], s[18:19], v[104:105], v[12:13]
	v_add_f64 v[18:19], v[46:47], v[18:19]
	v_add_f64 v[132:133], v[100:101], -v[96:97]
	v_add_f64 v[122:123], v[98:99], v[90:91]
	v_mul_f64 v[26:27], v[134:135], s[24:25]
	v_add_f64 v[88:89], v[80:81], -v[82:83]
	s_mov_b32 s11, 0xbfefac9e
	s_mov_b32 s8, 0x640f44db
	v_mul_f64 v[4:5], v[102:103], s[14:15]
	v_add_f64 v[74:75], v[78:79], v[70:71]
	s_mov_b32 s13, 0x3fda9628
	v_fma_f64 v[10:11], s[16:17], v[108:109], v[8:9]
	v_add_f64 v[14:15], v[14:15], v[18:19]
	v_add_f64 v[130:131], v[66:67], -v[62:63]
	v_add_f64 v[120:121], v[64:65], v[60:61]
	v_mul_f64 v[22:23], v[132:133], s[26:27]
	v_fma_f64 v[28:29], v[122:123], s[22:23], -v[26:27]
	v_mul_f64 v[0:1], v[88:89], s[10:11]
	v_add_f64 v[86:87], v[84:85], v[76:77]
	s_mov_b32 s9, 0xbfc2375f
	v_fma_f64 v[6:7], s[12:13], v[74:75], v[4:5]
	v_add_f64 v[10:11], v[10:11], v[14:15]
	v_add_f64 v[128:129], v[78:79], -v[70:71]
	v_add_f64 v[118:119], v[72:73], v[68:69]
	v_mul_f64 v[18:19], v[130:131], s[20:21]
	v_fma_f64 v[24:25], v[120:121], s[18:19], -v[22:23]
	v_add_f64 v[28:29], v[44:45], v[28:29]
	v_fma_f64 v[2:3], s[8:9], v[86:87], v[0:1]
	v_add_f64 v[6:7], v[6:7], v[10:11]
	v_add_f64 v[126:127], v[84:85], -v[76:77]
	v_add_f64 v[116:117], v[56:57], v[58:59]
	v_mul_f64 v[10:11], v[128:129], s[14:15]
	v_fma_f64 v[20:21], v[118:119], s[16:17], -v[18:19]
	v_add_f64 v[24:25], v[24:25], v[28:29]
	v_add_f64 v[38:39], v[2:3], v[6:7]
	;; [unrolled: 1-line block ×3, first 2 shown]
	v_mul_f64 v[2:3], v[126:127], s[10:11]
	v_fma_f64 v[14:15], v[116:117], s[12:13], -v[10:11]
	v_add_f64 v[20:21], v[20:21], v[24:25]
	v_fma_f64 v[6:7], v[114:115], s[8:9], -v[2:3]
	v_add_f64 v[14:15], v[14:15], v[20:21]
	v_add_f64 v[36:37], v[6:7], v[14:15]
	v_fma_f64 v[6:7], v[108:109], s[16:17], -v[8:9]
	v_fma_f64 v[8:9], v[104:105], s[18:19], -v[12:13]
	;; [unrolled: 1-line block ×3, first 2 shown]
	v_add_f64 v[12:13], v[46:47], v[12:13]
	v_add_f64 v[8:9], v[8:9], v[12:13]
	v_fma_f64 v[4:5], v[74:75], s[12:13], -v[4:5]
	v_add_f64 v[6:7], v[6:7], v[8:9]
	v_fma_f64 v[0:1], v[86:87], s[8:9], -v[0:1]
	v_add_f64 v[4:5], v[4:5], v[6:7]
	v_fmac_f64_e32 v[26:27], s[22:23], v[122:123]
	v_add_f64 v[42:43], v[0:1], v[4:5]
	v_fmac_f64_e32 v[22:23], s[18:19], v[120:121]
	v_add_f64 v[0:1], v[44:45], v[26:27]
	v_fmac_f64_e32 v[18:19], s[16:17], v[118:119]
	v_add_f64 v[0:1], v[22:23], v[0:1]
	s_mov_b32 s31, 0x3fefac9e
	s_mov_b32 s30, s10
	v_mul_f64 v[16:17], v[124:125], s[20:21]
	v_add_f64 v[0:1], v[18:19], v[0:1]
	s_mov_b32 s29, 0xbfe14ced
	s_mov_b32 s28, s26
	v_mul_f64 v[12:13], v[110:111], s[30:31]
	v_fma_f64 v[18:19], s[16:17], v[106:107], v[16:17]
	v_fmac_f64_e32 v[10:11], s[12:13], v[116:117]
	v_mul_f64 v[8:9], v[112:113], s[28:29]
	v_fma_f64 v[14:15], s[8:9], v[104:105], v[12:13]
	v_add_f64 v[18:19], v[46:47], v[18:19]
	v_mul_f64 v[26:27], v[134:135], s[20:21]
	v_fmac_f64_e32 v[2:3], s[8:9], v[114:115]
	v_add_f64 v[0:1], v[10:11], v[0:1]
	v_mul_f64 v[4:5], v[102:103], s[24:25]
	v_fma_f64 v[10:11], s[18:19], v[108:109], v[8:9]
	v_add_f64 v[14:15], v[14:15], v[18:19]
	v_mul_f64 v[22:23], v[132:133], s[30:31]
	v_fma_f64 v[28:29], v[122:123], s[16:17], -v[26:27]
	v_add_f64 v[40:41], v[2:3], v[0:1]
	v_mul_f64 v[0:1], v[88:89], s[14:15]
	v_fma_f64 v[6:7], s[22:23], v[74:75], v[4:5]
	v_add_f64 v[10:11], v[10:11], v[14:15]
	v_mul_f64 v[18:19], v[130:131], s[28:29]
	v_fma_f64 v[24:25], v[120:121], s[8:9], -v[22:23]
	v_add_f64 v[28:29], v[44:45], v[28:29]
	v_fma_f64 v[2:3], s[12:13], v[86:87], v[0:1]
	v_add_f64 v[6:7], v[6:7], v[10:11]
	v_mul_f64 v[10:11], v[128:129], s[24:25]
	v_fma_f64 v[20:21], v[118:119], s[18:19], -v[18:19]
	v_add_f64 v[24:25], v[24:25], v[28:29]
	v_add_f64 v[50:51], v[2:3], v[6:7]
	v_mul_f64 v[2:3], v[126:127], s[14:15]
	v_fma_f64 v[14:15], v[116:117], s[22:23], -v[10:11]
	v_add_f64 v[20:21], v[20:21], v[24:25]
	v_fma_f64 v[6:7], v[114:115], s[12:13], -v[2:3]
	v_add_f64 v[14:15], v[14:15], v[20:21]
	v_add_f64 v[48:49], v[6:7], v[14:15]
	v_fma_f64 v[6:7], v[108:109], s[18:19], -v[8:9]
	v_fma_f64 v[8:9], v[104:105], s[8:9], -v[12:13]
	;; [unrolled: 1-line block ×3, first 2 shown]
	v_add_f64 v[12:13], v[46:47], v[12:13]
	v_add_f64 v[8:9], v[8:9], v[12:13]
	v_fma_f64 v[4:5], v[74:75], s[22:23], -v[4:5]
	v_add_f64 v[6:7], v[6:7], v[8:9]
	v_fma_f64 v[0:1], v[86:87], s[12:13], -v[0:1]
	v_add_f64 v[4:5], v[4:5], v[6:7]
	v_fmac_f64_e32 v[26:27], s[16:17], v[122:123]
	v_add_f64 v[54:55], v[0:1], v[4:5]
	v_fmac_f64_e32 v[22:23], s[8:9], v[120:121]
	;; [unrolled: 2-line block ×3, first 2 shown]
	v_add_f64 v[0:1], v[22:23], v[0:1]
	s_mov_b32 s35, 0x3fd207e7
	s_mov_b32 s34, s24
	v_mul_f64 v[16:17], v[124:125], s[10:11]
	v_add_f64 v[0:1], v[18:19], v[0:1]
	v_mul_f64 v[12:13], v[110:111], s[34:35]
	v_fma_f64 v[18:19], s[8:9], v[106:107], v[16:17]
	v_fma_f64 v[16:17], v[106:107], s[8:9], -v[16:17]
	v_fmac_f64_e32 v[10:11], s[22:23], v[116:117]
	v_mul_f64 v[8:9], v[112:113], s[14:15]
	v_fma_f64 v[14:15], s[22:23], v[104:105], v[12:13]
	v_fma_f64 v[12:13], v[104:105], s[22:23], -v[12:13]
	v_add_f64 v[16:17], v[46:47], v[16:17]
	v_fmac_f64_e32 v[2:3], s[12:13], v[114:115]
	v_add_f64 v[0:1], v[10:11], v[0:1]
	v_mul_f64 v[6:7], v[102:103], s[28:29]
	v_fma_f64 v[10:11], s[12:13], v[108:109], v[8:9]
	v_fma_f64 v[8:9], v[108:109], s[12:13], -v[8:9]
	v_add_f64 v[12:13], v[12:13], v[16:17]
	v_add_f64 v[52:53], v[2:3], v[0:1]
	v_mul_f64 v[4:5], v[88:89], s[20:21]
	v_fma_f64 v[2:3], s[18:19], v[74:75], v[6:7]
	v_mul_f64 v[28:29], v[134:135], s[10:11]
	v_fma_f64 v[6:7], v[74:75], s[18:19], -v[6:7]
	v_add_f64 v[8:9], v[8:9], v[12:13]
	v_fma_f64 v[0:1], s[16:17], v[86:87], v[4:5]
	v_add_f64 v[18:19], v[46:47], v[18:19]
	v_mul_f64 v[24:25], v[132:133], s[34:35]
	v_fma_f64 v[30:31], v[122:123], s[8:9], -v[28:29]
	v_fma_f64 v[4:5], v[86:87], s[16:17], -v[4:5]
	v_add_f64 v[6:7], v[6:7], v[8:9]
	v_fmac_f64_e32 v[28:29], s[8:9], v[122:123]
	v_add_f64 v[14:15], v[14:15], v[18:19]
	v_mul_f64 v[20:21], v[130:131], s[14:15]
	v_fma_f64 v[26:27], v[120:121], s[22:23], -v[24:25]
	v_add_f64 v[30:31], v[44:45], v[30:31]
	v_add_f64 v[6:7], v[4:5], v[6:7]
	v_fmac_f64_e32 v[24:25], s[22:23], v[120:121]
	v_add_f64 v[4:5], v[44:45], v[28:29]
	s_mov_b32 s15, 0xbfed1bb4
	v_add_f64 v[10:11], v[10:11], v[14:15]
	v_mul_f64 v[14:15], v[128:129], s[28:29]
	v_fma_f64 v[22:23], v[118:119], s[12:13], -v[20:21]
	v_add_f64 v[26:27], v[26:27], v[30:31]
	v_fmac_f64_e32 v[20:21], s[12:13], v[118:119]
	v_add_f64 v[4:5], v[24:25], v[4:5]
	v_mul_f64 v[24:25], v[124:125], s[14:15]
	v_add_f64 v[2:3], v[2:3], v[10:11]
	v_mul_f64 v[10:11], v[126:127], s[20:21]
	v_fma_f64 v[18:19], v[116:117], s[18:19], -v[14:15]
	v_add_f64 v[22:23], v[22:23], v[26:27]
	v_add_f64 v[4:5], v[20:21], v[4:5]
	v_mul_f64 v[20:21], v[110:111], s[20:21]
	v_fma_f64 v[26:27], s[12:13], v[106:107], v[24:25]
	v_fma_f64 v[24:25], v[106:107], s[12:13], -v[24:25]
	v_add_f64 v[2:3], v[0:1], v[2:3]
	v_fma_f64 v[0:1], v[114:115], s[16:17], -v[10:11]
	v_add_f64 v[18:19], v[18:19], v[22:23]
	v_fmac_f64_e32 v[14:15], s[18:19], v[116:117]
	v_mul_f64 v[16:17], v[112:113], s[34:35]
	v_fma_f64 v[22:23], s[16:17], v[104:105], v[20:21]
	v_fma_f64 v[20:21], v[104:105], s[16:17], -v[20:21]
	v_add_f64 v[24:25], v[46:47], v[24:25]
	v_add_f64 v[0:1], v[0:1], v[18:19]
	v_fmac_f64_e32 v[10:11], s[16:17], v[114:115]
	v_add_f64 v[4:5], v[14:15], v[4:5]
	v_mul_f64 v[14:15], v[102:103], s[30:31]
	v_fma_f64 v[18:19], s[22:23], v[108:109], v[16:17]
	v_fma_f64 v[16:17], v[108:109], s[22:23], -v[16:17]
	v_add_f64 v[20:21], v[20:21], v[24:25]
	v_add_f64 v[4:5], v[10:11], v[4:5]
	v_mul_f64 v[12:13], v[88:89], s[26:27]
	v_fma_f64 v[10:11], s[8:9], v[74:75], v[14:15]
	v_mul_f64 v[136:137], v[134:135], s[14:15]
	v_fma_f64 v[14:15], v[74:75], s[8:9], -v[14:15]
	v_add_f64 v[16:17], v[16:17], v[20:21]
	v_fma_f64 v[8:9], s[18:19], v[86:87], v[12:13]
	v_add_f64 v[26:27], v[46:47], v[26:27]
	v_mul_f64 v[32:33], v[132:133], s[20:21]
	v_fma_f64 v[138:139], v[122:123], s[12:13], -v[136:137]
	v_fma_f64 v[12:13], v[86:87], s[18:19], -v[12:13]
	v_add_f64 v[14:15], v[14:15], v[16:17]
	v_fmac_f64_e32 v[136:137], s[12:13], v[122:123]
	v_add_f64 v[22:23], v[22:23], v[26:27]
	v_mul_f64 v[28:29], v[130:131], s[34:35]
	v_fma_f64 v[34:35], v[120:121], s[16:17], -v[32:33]
	v_add_f64 v[138:139], v[44:45], v[138:139]
	v_add_f64 v[14:15], v[12:13], v[14:15]
	v_fmac_f64_e32 v[32:33], s[16:17], v[120:121]
	v_add_f64 v[12:13], v[44:45], v[136:137]
	v_add_f64 v[18:19], v[18:19], v[22:23]
	v_mul_f64 v[22:23], v[128:129], s[30:31]
	v_fma_f64 v[30:31], v[118:119], s[22:23], -v[28:29]
	v_add_f64 v[34:35], v[34:35], v[138:139]
	v_fmac_f64_e32 v[28:29], s[22:23], v[118:119]
	v_add_f64 v[12:13], v[32:33], v[12:13]
	v_mul_f64 v[32:33], v[124:125], s[28:29]
	v_add_f64 v[10:11], v[10:11], v[18:19]
	v_mul_f64 v[18:19], v[126:127], s[26:27]
	v_fma_f64 v[26:27], v[116:117], s[8:9], -v[22:23]
	v_add_f64 v[30:31], v[30:31], v[34:35]
	v_add_f64 v[12:13], v[28:29], v[12:13]
	v_mul_f64 v[28:29], v[110:111], s[14:15]
	v_fma_f64 v[34:35], s[18:19], v[106:107], v[32:33]
	v_fma_f64 v[32:33], v[106:107], s[18:19], -v[32:33]
	v_add_f64 v[10:11], v[8:9], v[10:11]
	v_fma_f64 v[8:9], v[114:115], s[18:19], -v[18:19]
	v_add_f64 v[26:27], v[26:27], v[30:31]
	v_fmac_f64_e32 v[22:23], s[8:9], v[116:117]
	v_mul_f64 v[24:25], v[112:113], s[10:11]
	v_fma_f64 v[30:31], s[12:13], v[104:105], v[28:29]
	v_fma_f64 v[28:29], v[104:105], s[12:13], -v[28:29]
	v_add_f64 v[32:33], v[46:47], v[32:33]
	v_add_f64 v[8:9], v[8:9], v[26:27]
	v_fmac_f64_e32 v[18:19], s[18:19], v[114:115]
	v_add_f64 v[12:13], v[22:23], v[12:13]
	v_mul_f64 v[22:23], v[102:103], s[20:21]
	v_fma_f64 v[26:27], s[8:9], v[108:109], v[24:25]
	v_fma_f64 v[24:25], v[108:109], s[8:9], -v[24:25]
	v_add_f64 v[28:29], v[28:29], v[32:33]
	v_add_f64 v[12:13], v[18:19], v[12:13]
	v_fma_f64 v[18:19], s[16:17], v[74:75], v[22:23]
	v_fma_f64 v[22:23], v[74:75], s[16:17], -v[22:23]
	v_add_f64 v[24:25], v[24:25], v[28:29]
	v_add_f64 v[22:23], v[22:23], v[24:25]
	;; [unrolled: 1-line block ×7, first 2 shown]
	v_mul_f64 v[20:21], v[88:89], s[24:25]
	v_add_f64 v[26:27], v[26:27], v[30:31]
	v_mul_f64 v[124:125], v[134:135], s[28:29]
	v_add_f64 v[24:25], v[24:25], v[78:79]
	v_fma_f64 v[16:17], s[22:23], v[86:87], v[20:21]
	v_add_f64 v[18:19], v[18:19], v[26:27]
	v_mul_f64 v[26:27], v[126:127], s[24:25]
	v_mul_f64 v[110:111], v[132:133], s[14:15]
	v_fma_f64 v[126:127], v[122:123], s[18:19], -v[124:125]
	v_fma_f64 v[20:21], v[86:87], s[22:23], -v[20:21]
	v_fmac_f64_e32 v[124:125], s[18:19], v[122:123]
	v_add_f64 v[24:25], v[24:25], v[84:85]
	v_mul_f64 v[88:89], v[130:131], s[10:11]
	v_fma_f64 v[112:113], v[120:121], s[12:13], -v[110:111]
	v_add_f64 v[22:23], v[20:21], v[22:23]
	v_fmac_f64_e32 v[110:111], s[12:13], v[120:121]
	v_add_f64 v[20:21], v[44:45], v[124:125]
	v_add_f64 v[24:25], v[24:25], v[76:77]
	v_mul_f64 v[30:31], v[128:129], s[20:21]
	v_fma_f64 v[102:103], v[118:119], s[8:9], -v[88:89]
	v_fmac_f64_e32 v[88:89], s[8:9], v[118:119]
	v_add_f64 v[20:21], v[110:111], v[20:21]
	v_add_f64 v[24:25], v[24:25], v[70:71]
	v_fma_f64 v[34:35], v[116:117], s[16:17], -v[30:31]
	v_fmac_f64_e32 v[30:31], s[16:17], v[116:117]
	v_add_f64 v[20:21], v[88:89], v[20:21]
	v_add_f64 v[24:25], v[24:25], v[62:63]
	;; [unrolled: 1-line block ×3, first 2 shown]
	v_fma_f64 v[16:17], v[114:115], s[22:23], -v[26:27]
	v_fmac_f64_e32 v[26:27], s[22:23], v[114:115]
	v_add_f64 v[20:21], v[30:31], v[20:21]
	v_add_f64 v[24:25], v[24:25], v[96:97]
	;; [unrolled: 1-line block ×19, first 2 shown]
	ds_write_b128 v184, v[24:27]
	ds_write_b128 v184, v[20:23] offset:1584
	ds_write_b128 v184, v[12:15] offset:3168
	;; [unrolled: 1-line block ×10, first 2 shown]
.LBB0_17:
	s_or_b64 exec, exec, s[0:1]
	s_waitcnt lgkmcnt(0)
	s_barrier
	ds_read_b128 v[0:3], v184
	v_accvgpr_read_b32 v6, a26
	v_mad_u64_u32 v[14:15], s[0:1], s6, v6, 0
	v_mov_b32_e32 v4, v15
	v_accvgpr_read_b32 v19, a13
	v_mad_u64_u32 v[4:5], s[0:1], s7, v6, v[4:5]
	v_accvgpr_read_b32 v18, a12
	v_mov_b32_e32 v15, v4
	ds_read_b128 v[4:7], v184 offset:1936
	v_accvgpr_read_b32 v17, a11
	v_accvgpr_read_b32 v16, a10
	s_waitcnt lgkmcnt(1)
	v_mul_f64 v[8:9], v[18:19], v[2:3]
	v_fmac_f64_e32 v[8:9], v[16:17], v[0:1]
	s_mov_b32 s0, 0xa3611655
	v_mul_f64 v[0:1], v[18:19], v[0:1]
	v_mov_b32_e32 v12, s2
	v_mov_b32_e32 v13, s3
	s_mov_b32 s1, 0x3f4e1709
	v_fma_f64 v[0:1], v[16:17], v[2:3], -v[0:1]
	v_mad_u64_u32 v[16:17], s[2:3], s4, v254, 0
	v_mul_f64 v[10:11], v[0:1], s[0:1]
	v_mov_b32_e32 v0, v17
	v_mad_u64_u32 v[0:1], s[2:3], s5, v254, v[0:1]
	v_mov_b32_e32 v17, v0
	ds_read_b128 v[0:3], v184 offset:5808
	v_lshl_add_u64 v[12:13], v[14:15], 4, v[12:13]
	v_accvgpr_read_b32 v21, a5
	v_mul_f64 v[8:9], v[8:9], s[0:1]
	v_lshl_add_u64 v[16:17], v[16:17], 4, v[12:13]
	v_accvgpr_read_b32 v20, a4
	global_store_dwordx4 v[16:17], v[8:11], off
	ds_read_b128 v[8:11], v184 offset:3872
	v_accvgpr_read_b32 v19, a3
	v_accvgpr_read_b32 v18, a2
	s_waitcnt lgkmcnt(1)
	v_mul_f64 v[12:13], v[20:21], v[2:3]
	v_fmac_f64_e32 v[12:13], v[18:19], v[0:1]
	v_mul_f64 v[0:1], v[20:21], v[0:1]
	v_fma_f64 v[0:1], v[18:19], v[2:3], -v[0:1]
	v_mul_f64 v[14:15], v[0:1], s[0:1]
	ds_read_b128 v[0:3], v184 offset:11616
	v_mov_b32_e32 v22, 0x16b0
	v_mad_u64_u32 v[20:21], s[2:3], s4, v22, v[16:17]
	s_mul_i32 s6, s5, 0x16b0
	v_accvgpr_read_b32 v27, a9
	v_mul_f64 v[12:13], v[12:13], s[0:1]
	v_add_u32_e32 v21, s6, v21
	v_accvgpr_read_b32 v26, a8
	global_store_dwordx4 v[20:21], v[12:15], off
	ds_read_b128 v[12:15], v184 offset:13552
	v_accvgpr_read_b32 v25, a7
	v_accvgpr_read_b32 v24, a6
	s_waitcnt lgkmcnt(1)
	v_mul_f64 v[16:17], v[26:27], v[2:3]
	v_fmac_f64_e32 v[16:17], v[24:25], v[0:1]
	v_mul_f64 v[0:1], v[26:27], v[0:1]
	v_fma_f64 v[0:1], v[24:25], v[2:3], -v[0:1]
	v_mad_u64_u32 v[20:21], s[2:3], s4, v22, v[20:21]
	v_mul_f64 v[16:17], v[16:17], s[0:1]
	v_mul_f64 v[18:19], v[0:1], s[0:1]
	v_add_u32_e32 v21, s6, v21
	global_store_dwordx4 v[20:21], v[16:19], off
	v_mov_b32_e32 v23, 0xffffda30
	v_mad_u64_u32 v[20:21], s[2:3], s4, v23, v[20:21]
	v_accvgpr_read_b32 v16, a18
	v_accvgpr_read_b32 v18, a20
	;; [unrolled: 1-line block ×4, first 2 shown]
	v_mul_f64 v[0:1], v[18:19], v[6:7]
	v_mul_f64 v[2:3], v[18:19], v[4:5]
	v_fmac_f64_e32 v[0:1], v[16:17], v[4:5]
	v_fma_f64 v[2:3], v[16:17], v[6:7], -v[2:3]
	ds_read_b128 v[4:7], v184 offset:7744
	s_mul_i32 s2, s5, 0xffffda30
	s_sub_i32 s5, s2, s4
	v_accvgpr_read_b32 v27, a17
	v_mul_f64 v[0:1], v[0:1], s[0:1]
	v_mul_f64 v[2:3], v[2:3], s[0:1]
	v_add_u32_e32 v21, s5, v21
	v_accvgpr_read_b32 v26, a16
	global_store_dwordx4 v[20:21], v[0:3], off
	ds_read_b128 v[0:3], v184 offset:9680
	v_accvgpr_read_b32 v25, a15
	v_accvgpr_read_b32 v24, a14
	s_waitcnt lgkmcnt(1)
	v_mul_f64 v[16:17], v[26:27], v[6:7]
	v_fmac_f64_e32 v[16:17], v[24:25], v[4:5]
	v_mul_f64 v[4:5], v[26:27], v[4:5]
	v_fma_f64 v[4:5], v[24:25], v[6:7], -v[4:5]
	v_mad_u64_u32 v[20:21], s[2:3], s4, v22, v[20:21]
	v_mul_f64 v[16:17], v[16:17], s[0:1]
	v_mul_f64 v[18:19], v[4:5], s[0:1]
	v_add_u32_e32 v21, s6, v21
	global_store_dwordx4 v[20:21], v[16:19], off
	s_nop 1
	v_accvgpr_read_b32 v16, a22
	v_accvgpr_read_b32 v18, a24
	;; [unrolled: 1-line block ×4, first 2 shown]
	v_mul_f64 v[4:5], v[18:19], v[14:15]
	v_mul_f64 v[6:7], v[18:19], v[12:13]
	v_fmac_f64_e32 v[4:5], v[16:17], v[12:13]
	v_fma_f64 v[6:7], v[16:17], v[14:15], -v[6:7]
	v_mad_u64_u32 v[12:13], s[2:3], s4, v22, v[20:21]
	v_accvgpr_read_b32 v14, a28
	v_mul_f64 v[4:5], v[4:5], s[0:1]
	v_mul_f64 v[6:7], v[6:7], s[0:1]
	v_add_u32_e32 v13, s6, v13
	v_accvgpr_read_b32 v16, a30
	v_accvgpr_read_b32 v17, a31
	global_store_dwordx4 v[12:13], v[4:7], off
	v_accvgpr_read_b32 v15, a29
	s_nop 0
	v_mul_f64 v[4:5], v[16:17], v[10:11]
	v_mul_f64 v[6:7], v[16:17], v[8:9]
	v_fmac_f64_e32 v[4:5], v[14:15], v[8:9]
	v_fma_f64 v[6:7], v[14:15], v[10:11], -v[6:7]
	v_mad_u64_u32 v[8:9], s[2:3], s4, v23, v[12:13]
	v_accvgpr_read_b32 v10, a32
	v_mul_f64 v[4:5], v[4:5], s[0:1]
	v_mul_f64 v[6:7], v[6:7], s[0:1]
	v_add_u32_e32 v9, s5, v9
	v_accvgpr_read_b32 v12, a34
	v_accvgpr_read_b32 v13, a35
	global_store_dwordx4 v[8:9], v[4:7], off
	v_accvgpr_read_b32 v11, a33
	v_mad_u64_u32 v[8:9], s[2:3], s4, v22, v[8:9]
	s_waitcnt lgkmcnt(0)
	v_mul_f64 v[4:5], v[12:13], v[2:3]
	v_fmac_f64_e32 v[4:5], v[10:11], v[0:1]
	v_mul_f64 v[0:1], v[12:13], v[0:1]
	v_fma_f64 v[0:1], v[10:11], v[2:3], -v[0:1]
	v_mul_f64 v[6:7], v[0:1], s[0:1]
	ds_read_b128 v[0:3], v184 offset:15488
	v_accvgpr_read_b32 v10, a36
	v_mul_f64 v[4:5], v[4:5], s[0:1]
	v_add_u32_e32 v9, s6, v9
	v_accvgpr_read_b32 v12, a38
	v_accvgpr_read_b32 v13, a39
	global_store_dwordx4 v[8:9], v[4:7], off
	v_accvgpr_read_b32 v11, a37
	s_waitcnt lgkmcnt(0)
	v_mul_f64 v[4:5], v[12:13], v[2:3]
	v_fmac_f64_e32 v[4:5], v[10:11], v[0:1]
	v_mul_f64 v[0:1], v[12:13], v[0:1]
	v_fma_f64 v[0:1], v[10:11], v[2:3], -v[0:1]
	v_mul_f64 v[4:5], v[4:5], s[0:1]
	v_mul_f64 v[6:7], v[0:1], s[0:1]
	v_mad_u64_u32 v[0:1], s[0:1], s4, v22, v[8:9]
	v_add_u32_e32 v1, s6, v1
	global_store_dwordx4 v[0:1], v[4:7], off
.LBB0_18:
	s_endpgm
	.section	.rodata,"a",@progbits
	.p2align	6, 0x0
	.amdhsa_kernel bluestein_single_back_len1089_dim1_dp_op_CI_CI
		.amdhsa_group_segment_fixed_size 17424
		.amdhsa_private_segment_fixed_size 0
		.amdhsa_kernarg_size 104
		.amdhsa_user_sgpr_count 2
		.amdhsa_user_sgpr_dispatch_ptr 0
		.amdhsa_user_sgpr_queue_ptr 0
		.amdhsa_user_sgpr_kernarg_segment_ptr 1
		.amdhsa_user_sgpr_dispatch_id 0
		.amdhsa_user_sgpr_kernarg_preload_length 0
		.amdhsa_user_sgpr_kernarg_preload_offset 0
		.amdhsa_user_sgpr_private_segment_size 0
		.amdhsa_uses_dynamic_stack 0
		.amdhsa_enable_private_segment 0
		.amdhsa_system_sgpr_workgroup_id_x 1
		.amdhsa_system_sgpr_workgroup_id_y 0
		.amdhsa_system_sgpr_workgroup_id_z 0
		.amdhsa_system_sgpr_workgroup_info 0
		.amdhsa_system_vgpr_workitem_id 0
		.amdhsa_next_free_vgpr 364
		.amdhsa_next_free_sgpr 44
		.amdhsa_accum_offset 256
		.amdhsa_reserve_vcc 1
		.amdhsa_float_round_mode_32 0
		.amdhsa_float_round_mode_16_64 0
		.amdhsa_float_denorm_mode_32 3
		.amdhsa_float_denorm_mode_16_64 3
		.amdhsa_dx10_clamp 1
		.amdhsa_ieee_mode 1
		.amdhsa_fp16_overflow 0
		.amdhsa_tg_split 0
		.amdhsa_exception_fp_ieee_invalid_op 0
		.amdhsa_exception_fp_denorm_src 0
		.amdhsa_exception_fp_ieee_div_zero 0
		.amdhsa_exception_fp_ieee_overflow 0
		.amdhsa_exception_fp_ieee_underflow 0
		.amdhsa_exception_fp_ieee_inexact 0
		.amdhsa_exception_int_div_zero 0
	.end_amdhsa_kernel
	.text
.Lfunc_end0:
	.size	bluestein_single_back_len1089_dim1_dp_op_CI_CI, .Lfunc_end0-bluestein_single_back_len1089_dim1_dp_op_CI_CI
                                        ; -- End function
	.section	.AMDGPU.csdata,"",@progbits
; Kernel info:
; codeLenInByte = 19320
; NumSgprs: 50
; NumVgprs: 256
; NumAgprs: 108
; TotalNumVgprs: 364
; ScratchSize: 0
; MemoryBound: 0
; FloatMode: 240
; IeeeMode: 1
; LDSByteSize: 17424 bytes/workgroup (compile time only)
; SGPRBlocks: 6
; VGPRBlocks: 45
; NumSGPRsForWavesPerEU: 50
; NumVGPRsForWavesPerEU: 364
; AccumOffset: 256
; Occupancy: 1
; WaveLimiterHint : 1
; COMPUTE_PGM_RSRC2:SCRATCH_EN: 0
; COMPUTE_PGM_RSRC2:USER_SGPR: 2
; COMPUTE_PGM_RSRC2:TRAP_HANDLER: 0
; COMPUTE_PGM_RSRC2:TGID_X_EN: 1
; COMPUTE_PGM_RSRC2:TGID_Y_EN: 0
; COMPUTE_PGM_RSRC2:TGID_Z_EN: 0
; COMPUTE_PGM_RSRC2:TIDIG_COMP_CNT: 0
; COMPUTE_PGM_RSRC3_GFX90A:ACCUM_OFFSET: 63
; COMPUTE_PGM_RSRC3_GFX90A:TG_SPLIT: 0
	.text
	.p2alignl 6, 3212836864
	.fill 256, 4, 3212836864
	.type	__hip_cuid_fecf1a60b984ac59,@object ; @__hip_cuid_fecf1a60b984ac59
	.section	.bss,"aw",@nobits
	.globl	__hip_cuid_fecf1a60b984ac59
__hip_cuid_fecf1a60b984ac59:
	.byte	0                               ; 0x0
	.size	__hip_cuid_fecf1a60b984ac59, 1

	.ident	"AMD clang version 19.0.0git (https://github.com/RadeonOpenCompute/llvm-project roc-6.4.0 25133 c7fe45cf4b819c5991fe208aaa96edf142730f1d)"
	.section	".note.GNU-stack","",@progbits
	.addrsig
	.addrsig_sym __hip_cuid_fecf1a60b984ac59
	.amdgpu_metadata
---
amdhsa.kernels:
  - .agpr_count:     108
    .args:
      - .actual_access:  read_only
        .address_space:  global
        .offset:         0
        .size:           8
        .value_kind:     global_buffer
      - .actual_access:  read_only
        .address_space:  global
        .offset:         8
        .size:           8
        .value_kind:     global_buffer
      - .actual_access:  read_only
        .address_space:  global
        .offset:         16
        .size:           8
        .value_kind:     global_buffer
      - .actual_access:  read_only
        .address_space:  global
        .offset:         24
        .size:           8
        .value_kind:     global_buffer
      - .actual_access:  read_only
        .address_space:  global
        .offset:         32
        .size:           8
        .value_kind:     global_buffer
      - .offset:         40
        .size:           8
        .value_kind:     by_value
      - .address_space:  global
        .offset:         48
        .size:           8
        .value_kind:     global_buffer
      - .address_space:  global
        .offset:         56
        .size:           8
        .value_kind:     global_buffer
      - .address_space:  global
        .offset:         64
        .size:           8
        .value_kind:     global_buffer
      - .address_space:  global
        .offset:         72
        .size:           8
        .value_kind:     global_buffer
      - .offset:         80
        .size:           4
        .value_kind:     by_value
      - .address_space:  global
        .offset:         88
        .size:           8
        .value_kind:     global_buffer
      - .address_space:  global
        .offset:         96
        .size:           8
        .value_kind:     global_buffer
    .group_segment_fixed_size: 17424
    .kernarg_segment_align: 8
    .kernarg_segment_size: 104
    .language:       OpenCL C
    .language_version:
      - 2
      - 0
    .max_flat_workgroup_size: 121
    .name:           bluestein_single_back_len1089_dim1_dp_op_CI_CI
    .private_segment_fixed_size: 0
    .sgpr_count:     50
    .sgpr_spill_count: 0
    .symbol:         bluestein_single_back_len1089_dim1_dp_op_CI_CI.kd
    .uniform_work_group_size: 1
    .uses_dynamic_stack: false
    .vgpr_count:     364
    .vgpr_spill_count: 0
    .wavefront_size: 64
amdhsa.target:   amdgcn-amd-amdhsa--gfx950
amdhsa.version:
  - 1
  - 2
...

	.end_amdgpu_metadata
